;; amdgpu-corpus repo=ROCm/rocSPARSE kind=compiled arch=gfx906 opt=O3
	.amdgcn_target "amdgcn-amd-amdhsa--gfx906"
	.amdhsa_code_object_version 6
	.section	.text._ZN9rocsparseL39csr2bsr_nnz_block_dim_equals_one_kernelILj256EiiEEvT1_21rocsparse_index_base_PKT0_S2_PS3_S6_,"axG",@progbits,_ZN9rocsparseL39csr2bsr_nnz_block_dim_equals_one_kernelILj256EiiEEvT1_21rocsparse_index_base_PKT0_S2_PS3_S6_,comdat
	.globl	_ZN9rocsparseL39csr2bsr_nnz_block_dim_equals_one_kernelILj256EiiEEvT1_21rocsparse_index_base_PKT0_S2_PS3_S6_ ; -- Begin function _ZN9rocsparseL39csr2bsr_nnz_block_dim_equals_one_kernelILj256EiiEEvT1_21rocsparse_index_base_PKT0_S2_PS3_S6_
	.p2align	8
	.type	_ZN9rocsparseL39csr2bsr_nnz_block_dim_equals_one_kernelILj256EiiEEvT1_21rocsparse_index_base_PKT0_S2_PS3_S6_,@function
_ZN9rocsparseL39csr2bsr_nnz_block_dim_equals_one_kernelILj256EiiEEvT1_21rocsparse_index_base_PKT0_S2_PS3_S6_: ; @_ZN9rocsparseL39csr2bsr_nnz_block_dim_equals_one_kernelILj256EiiEEvT1_21rocsparse_index_base_PKT0_S2_PS3_S6_
; %bb.0:
	s_load_dword s7, s[4:5], 0x34
	s_load_dwordx4 s[0:3], s[4:5], 0x0
	s_waitcnt lgkmcnt(0)
	s_and_b32 s7, s7, 0xffff
	s_mul_i32 s6, s6, s7
	v_add_u32_e32 v0, s6, v0
	v_cmp_ge_i32_e32 vcc, s0, v0
	s_and_saveexec_b64 s[6:7], vcc
	s_cbranch_execnz .LBB0_3
; %bb.1:
	s_or_b64 exec, exec, s[6:7]
	v_cmp_eq_u32_e32 vcc, 0, v0
	s_and_saveexec_b64 s[6:7], vcc
	s_cbranch_execnz .LBB0_4
.LBB0_2:
	s_endpgm
.LBB0_3:
	v_ashrrev_i32_e32 v1, 31, v0
	v_lshlrev_b64 v[1:2], 2, v[0:1]
	v_mov_b32_e32 v4, s3
	v_add_co_u32_e32 v3, vcc, s2, v1
	v_addc_co_u32_e32 v4, vcc, v4, v2, vcc
	global_load_dword v3, v[3:4], off
	s_load_dwordx2 s[8:9], s[4:5], 0x18
	s_load_dword s10, s[4:5], 0x10
	s_waitcnt lgkmcnt(0)
	v_mov_b32_e32 v4, s9
	v_add_co_u32_e32 v1, vcc, s8, v1
	s_sub_i32 s1, s10, s1
	v_addc_co_u32_e32 v2, vcc, v4, v2, vcc
	s_waitcnt vmcnt(0)
	v_add_u32_e32 v3, s1, v3
	global_store_dword v[1:2], v3, off
	s_or_b64 exec, exec, s[6:7]
	v_cmp_eq_u32_e32 vcc, 0, v0
	s_and_saveexec_b64 s[6:7], vcc
	s_cbranch_execz .LBB0_2
.LBB0_4:
	s_ashr_i32 s1, s0, 31
	s_lshl_b64 s[0:1], s[0:1], 2
	s_add_u32 s0, s2, s0
	s_addc_u32 s1, s3, s1
	s_load_dword s8, s[0:1], 0x0
	s_load_dword s9, s[2:3], 0x0
	s_load_dwordx2 s[6:7], s[4:5], 0x20
	v_mov_b32_e32 v0, 0
	s_waitcnt lgkmcnt(0)
	s_sub_i32 s0, s8, s9
	v_mov_b32_e32 v1, s0
	global_store_dword v0, v1, s[6:7]
	s_endpgm
	.section	.rodata,"a",@progbits
	.p2align	6, 0x0
	.amdhsa_kernel _ZN9rocsparseL39csr2bsr_nnz_block_dim_equals_one_kernelILj256EiiEEvT1_21rocsparse_index_base_PKT0_S2_PS3_S6_
		.amdhsa_group_segment_fixed_size 0
		.amdhsa_private_segment_fixed_size 0
		.amdhsa_kernarg_size 296
		.amdhsa_user_sgpr_count 6
		.amdhsa_user_sgpr_private_segment_buffer 1
		.amdhsa_user_sgpr_dispatch_ptr 0
		.amdhsa_user_sgpr_queue_ptr 0
		.amdhsa_user_sgpr_kernarg_segment_ptr 1
		.amdhsa_user_sgpr_dispatch_id 0
		.amdhsa_user_sgpr_flat_scratch_init 0
		.amdhsa_user_sgpr_private_segment_size 0
		.amdhsa_uses_dynamic_stack 0
		.amdhsa_system_sgpr_private_segment_wavefront_offset 0
		.amdhsa_system_sgpr_workgroup_id_x 1
		.amdhsa_system_sgpr_workgroup_id_y 0
		.amdhsa_system_sgpr_workgroup_id_z 0
		.amdhsa_system_sgpr_workgroup_info 0
		.amdhsa_system_vgpr_workitem_id 0
		.amdhsa_next_free_vgpr 5
		.amdhsa_next_free_sgpr 11
		.amdhsa_reserve_vcc 1
		.amdhsa_reserve_flat_scratch 0
		.amdhsa_float_round_mode_32 0
		.amdhsa_float_round_mode_16_64 0
		.amdhsa_float_denorm_mode_32 3
		.amdhsa_float_denorm_mode_16_64 3
		.amdhsa_dx10_clamp 1
		.amdhsa_ieee_mode 1
		.amdhsa_fp16_overflow 0
		.amdhsa_exception_fp_ieee_invalid_op 0
		.amdhsa_exception_fp_denorm_src 0
		.amdhsa_exception_fp_ieee_div_zero 0
		.amdhsa_exception_fp_ieee_overflow 0
		.amdhsa_exception_fp_ieee_underflow 0
		.amdhsa_exception_fp_ieee_inexact 0
		.amdhsa_exception_int_div_zero 0
	.end_amdhsa_kernel
	.section	.text._ZN9rocsparseL39csr2bsr_nnz_block_dim_equals_one_kernelILj256EiiEEvT1_21rocsparse_index_base_PKT0_S2_PS3_S6_,"axG",@progbits,_ZN9rocsparseL39csr2bsr_nnz_block_dim_equals_one_kernelILj256EiiEEvT1_21rocsparse_index_base_PKT0_S2_PS3_S6_,comdat
.Lfunc_end0:
	.size	_ZN9rocsparseL39csr2bsr_nnz_block_dim_equals_one_kernelILj256EiiEEvT1_21rocsparse_index_base_PKT0_S2_PS3_S6_, .Lfunc_end0-_ZN9rocsparseL39csr2bsr_nnz_block_dim_equals_one_kernelILj256EiiEEvT1_21rocsparse_index_base_PKT0_S2_PS3_S6_
                                        ; -- End function
	.set _ZN9rocsparseL39csr2bsr_nnz_block_dim_equals_one_kernelILj256EiiEEvT1_21rocsparse_index_base_PKT0_S2_PS3_S6_.num_vgpr, 5
	.set _ZN9rocsparseL39csr2bsr_nnz_block_dim_equals_one_kernelILj256EiiEEvT1_21rocsparse_index_base_PKT0_S2_PS3_S6_.num_agpr, 0
	.set _ZN9rocsparseL39csr2bsr_nnz_block_dim_equals_one_kernelILj256EiiEEvT1_21rocsparse_index_base_PKT0_S2_PS3_S6_.numbered_sgpr, 11
	.set _ZN9rocsparseL39csr2bsr_nnz_block_dim_equals_one_kernelILj256EiiEEvT1_21rocsparse_index_base_PKT0_S2_PS3_S6_.num_named_barrier, 0
	.set _ZN9rocsparseL39csr2bsr_nnz_block_dim_equals_one_kernelILj256EiiEEvT1_21rocsparse_index_base_PKT0_S2_PS3_S6_.private_seg_size, 0
	.set _ZN9rocsparseL39csr2bsr_nnz_block_dim_equals_one_kernelILj256EiiEEvT1_21rocsparse_index_base_PKT0_S2_PS3_S6_.uses_vcc, 1
	.set _ZN9rocsparseL39csr2bsr_nnz_block_dim_equals_one_kernelILj256EiiEEvT1_21rocsparse_index_base_PKT0_S2_PS3_S6_.uses_flat_scratch, 0
	.set _ZN9rocsparseL39csr2bsr_nnz_block_dim_equals_one_kernelILj256EiiEEvT1_21rocsparse_index_base_PKT0_S2_PS3_S6_.has_dyn_sized_stack, 0
	.set _ZN9rocsparseL39csr2bsr_nnz_block_dim_equals_one_kernelILj256EiiEEvT1_21rocsparse_index_base_PKT0_S2_PS3_S6_.has_recursion, 0
	.set _ZN9rocsparseL39csr2bsr_nnz_block_dim_equals_one_kernelILj256EiiEEvT1_21rocsparse_index_base_PKT0_S2_PS3_S6_.has_indirect_call, 0
	.section	.AMDGPU.csdata,"",@progbits
; Kernel info:
; codeLenInByte = 236
; TotalNumSgprs: 15
; NumVgprs: 5
; ScratchSize: 0
; MemoryBound: 0
; FloatMode: 240
; IeeeMode: 1
; LDSByteSize: 0 bytes/workgroup (compile time only)
; SGPRBlocks: 1
; VGPRBlocks: 1
; NumSGPRsForWavesPerEU: 15
; NumVGPRsForWavesPerEU: 5
; Occupancy: 10
; WaveLimiterHint : 0
; COMPUTE_PGM_RSRC2:SCRATCH_EN: 0
; COMPUTE_PGM_RSRC2:USER_SGPR: 6
; COMPUTE_PGM_RSRC2:TRAP_HANDLER: 0
; COMPUTE_PGM_RSRC2:TGID_X_EN: 1
; COMPUTE_PGM_RSRC2:TGID_Y_EN: 0
; COMPUTE_PGM_RSRC2:TGID_Z_EN: 0
; COMPUTE_PGM_RSRC2:TIDIG_COMP_CNT: 0
	.section	.text._ZN9rocsparseL39csr2bsr_nnz_block_dim_equals_one_kernelILj256EiiEEvT1_21rocsparse_index_base_PKT0_S2_PS3_,"axG",@progbits,_ZN9rocsparseL39csr2bsr_nnz_block_dim_equals_one_kernelILj256EiiEEvT1_21rocsparse_index_base_PKT0_S2_PS3_,comdat
	.globl	_ZN9rocsparseL39csr2bsr_nnz_block_dim_equals_one_kernelILj256EiiEEvT1_21rocsparse_index_base_PKT0_S2_PS3_ ; -- Begin function _ZN9rocsparseL39csr2bsr_nnz_block_dim_equals_one_kernelILj256EiiEEvT1_21rocsparse_index_base_PKT0_S2_PS3_
	.p2align	8
	.type	_ZN9rocsparseL39csr2bsr_nnz_block_dim_equals_one_kernelILj256EiiEEvT1_21rocsparse_index_base_PKT0_S2_PS3_,@function
_ZN9rocsparseL39csr2bsr_nnz_block_dim_equals_one_kernelILj256EiiEEvT1_21rocsparse_index_base_PKT0_S2_PS3_: ; @_ZN9rocsparseL39csr2bsr_nnz_block_dim_equals_one_kernelILj256EiiEEvT1_21rocsparse_index_base_PKT0_S2_PS3_
; %bb.0:
	s_load_dwordx2 s[0:1], s[4:5], 0x0
	v_lshl_or_b32 v0, s6, 8, v0
	s_waitcnt lgkmcnt(0)
	v_cmp_ge_i32_e32 vcc, s0, v0
	s_and_saveexec_b64 s[2:3], vcc
	s_cbranch_execz .LBB1_2
; %bb.1:
	s_load_dwordx2 s[2:3], s[4:5], 0x8
	s_load_dword s0, s[4:5], 0x10
	v_ashrrev_i32_e32 v1, 31, v0
	v_lshlrev_b64 v[0:1], 2, v[0:1]
	s_waitcnt lgkmcnt(0)
	v_mov_b32_e32 v3, s3
	v_add_co_u32_e32 v2, vcc, s2, v0
	v_addc_co_u32_e32 v3, vcc, v3, v1, vcc
	global_load_dword v2, v[2:3], off
	s_load_dwordx2 s[2:3], s[4:5], 0x18
	s_sub_i32 s0, s0, s1
	s_waitcnt lgkmcnt(0)
	v_mov_b32_e32 v3, s3
	v_add_co_u32_e32 v0, vcc, s2, v0
	v_addc_co_u32_e32 v1, vcc, v3, v1, vcc
	s_waitcnt vmcnt(0)
	v_add_u32_e32 v2, s0, v2
	global_store_dword v[0:1], v2, off
.LBB1_2:
	s_endpgm
	.section	.rodata,"a",@progbits
	.p2align	6, 0x0
	.amdhsa_kernel _ZN9rocsparseL39csr2bsr_nnz_block_dim_equals_one_kernelILj256EiiEEvT1_21rocsparse_index_base_PKT0_S2_PS3_
		.amdhsa_group_segment_fixed_size 0
		.amdhsa_private_segment_fixed_size 0
		.amdhsa_kernarg_size 32
		.amdhsa_user_sgpr_count 6
		.amdhsa_user_sgpr_private_segment_buffer 1
		.amdhsa_user_sgpr_dispatch_ptr 0
		.amdhsa_user_sgpr_queue_ptr 0
		.amdhsa_user_sgpr_kernarg_segment_ptr 1
		.amdhsa_user_sgpr_dispatch_id 0
		.amdhsa_user_sgpr_flat_scratch_init 0
		.amdhsa_user_sgpr_private_segment_size 0
		.amdhsa_uses_dynamic_stack 0
		.amdhsa_system_sgpr_private_segment_wavefront_offset 0
		.amdhsa_system_sgpr_workgroup_id_x 1
		.amdhsa_system_sgpr_workgroup_id_y 0
		.amdhsa_system_sgpr_workgroup_id_z 0
		.amdhsa_system_sgpr_workgroup_info 0
		.amdhsa_system_vgpr_workitem_id 0
		.amdhsa_next_free_vgpr 4
		.amdhsa_next_free_sgpr 7
		.amdhsa_reserve_vcc 1
		.amdhsa_reserve_flat_scratch 0
		.amdhsa_float_round_mode_32 0
		.amdhsa_float_round_mode_16_64 0
		.amdhsa_float_denorm_mode_32 3
		.amdhsa_float_denorm_mode_16_64 3
		.amdhsa_dx10_clamp 1
		.amdhsa_ieee_mode 1
		.amdhsa_fp16_overflow 0
		.amdhsa_exception_fp_ieee_invalid_op 0
		.amdhsa_exception_fp_denorm_src 0
		.amdhsa_exception_fp_ieee_div_zero 0
		.amdhsa_exception_fp_ieee_overflow 0
		.amdhsa_exception_fp_ieee_underflow 0
		.amdhsa_exception_fp_ieee_inexact 0
		.amdhsa_exception_int_div_zero 0
	.end_amdhsa_kernel
	.section	.text._ZN9rocsparseL39csr2bsr_nnz_block_dim_equals_one_kernelILj256EiiEEvT1_21rocsparse_index_base_PKT0_S2_PS3_,"axG",@progbits,_ZN9rocsparseL39csr2bsr_nnz_block_dim_equals_one_kernelILj256EiiEEvT1_21rocsparse_index_base_PKT0_S2_PS3_,comdat
.Lfunc_end1:
	.size	_ZN9rocsparseL39csr2bsr_nnz_block_dim_equals_one_kernelILj256EiiEEvT1_21rocsparse_index_base_PKT0_S2_PS3_, .Lfunc_end1-_ZN9rocsparseL39csr2bsr_nnz_block_dim_equals_one_kernelILj256EiiEEvT1_21rocsparse_index_base_PKT0_S2_PS3_
                                        ; -- End function
	.set _ZN9rocsparseL39csr2bsr_nnz_block_dim_equals_one_kernelILj256EiiEEvT1_21rocsparse_index_base_PKT0_S2_PS3_.num_vgpr, 4
	.set _ZN9rocsparseL39csr2bsr_nnz_block_dim_equals_one_kernelILj256EiiEEvT1_21rocsparse_index_base_PKT0_S2_PS3_.num_agpr, 0
	.set _ZN9rocsparseL39csr2bsr_nnz_block_dim_equals_one_kernelILj256EiiEEvT1_21rocsparse_index_base_PKT0_S2_PS3_.numbered_sgpr, 7
	.set _ZN9rocsparseL39csr2bsr_nnz_block_dim_equals_one_kernelILj256EiiEEvT1_21rocsparse_index_base_PKT0_S2_PS3_.num_named_barrier, 0
	.set _ZN9rocsparseL39csr2bsr_nnz_block_dim_equals_one_kernelILj256EiiEEvT1_21rocsparse_index_base_PKT0_S2_PS3_.private_seg_size, 0
	.set _ZN9rocsparseL39csr2bsr_nnz_block_dim_equals_one_kernelILj256EiiEEvT1_21rocsparse_index_base_PKT0_S2_PS3_.uses_vcc, 1
	.set _ZN9rocsparseL39csr2bsr_nnz_block_dim_equals_one_kernelILj256EiiEEvT1_21rocsparse_index_base_PKT0_S2_PS3_.uses_flat_scratch, 0
	.set _ZN9rocsparseL39csr2bsr_nnz_block_dim_equals_one_kernelILj256EiiEEvT1_21rocsparse_index_base_PKT0_S2_PS3_.has_dyn_sized_stack, 0
	.set _ZN9rocsparseL39csr2bsr_nnz_block_dim_equals_one_kernelILj256EiiEEvT1_21rocsparse_index_base_PKT0_S2_PS3_.has_recursion, 0
	.set _ZN9rocsparseL39csr2bsr_nnz_block_dim_equals_one_kernelILj256EiiEEvT1_21rocsparse_index_base_PKT0_S2_PS3_.has_indirect_call, 0
	.section	.AMDGPU.csdata,"",@progbits
; Kernel info:
; codeLenInByte = 132
; TotalNumSgprs: 11
; NumVgprs: 4
; ScratchSize: 0
; MemoryBound: 0
; FloatMode: 240
; IeeeMode: 1
; LDSByteSize: 0 bytes/workgroup (compile time only)
; SGPRBlocks: 1
; VGPRBlocks: 0
; NumSGPRsForWavesPerEU: 11
; NumVGPRsForWavesPerEU: 4
; Occupancy: 10
; WaveLimiterHint : 0
; COMPUTE_PGM_RSRC2:SCRATCH_EN: 0
; COMPUTE_PGM_RSRC2:USER_SGPR: 6
; COMPUTE_PGM_RSRC2:TRAP_HANDLER: 0
; COMPUTE_PGM_RSRC2:TGID_X_EN: 1
; COMPUTE_PGM_RSRC2:TGID_Y_EN: 0
; COMPUTE_PGM_RSRC2:TGID_Z_EN: 0
; COMPUTE_PGM_RSRC2:TIDIG_COMP_CNT: 0
	.section	.text._ZN9rocsparseL46csr2bsr_nnz_wavefront_per_row_multipass_kernelILj256ELj16ELj4EiiEEvT3_S1_S1_S1_S1_21rocsparse_index_base_PKT2_PKS1_S2_PS3_,"axG",@progbits,_ZN9rocsparseL46csr2bsr_nnz_wavefront_per_row_multipass_kernelILj256ELj16ELj4EiiEEvT3_S1_S1_S1_S1_21rocsparse_index_base_PKT2_PKS1_S2_PS3_,comdat
	.globl	_ZN9rocsparseL46csr2bsr_nnz_wavefront_per_row_multipass_kernelILj256ELj16ELj4EiiEEvT3_S1_S1_S1_S1_21rocsparse_index_base_PKT2_PKS1_S2_PS3_ ; -- Begin function _ZN9rocsparseL46csr2bsr_nnz_wavefront_per_row_multipass_kernelILj256ELj16ELj4EiiEEvT3_S1_S1_S1_S1_21rocsparse_index_base_PKT2_PKS1_S2_PS3_
	.p2align	8
	.type	_ZN9rocsparseL46csr2bsr_nnz_wavefront_per_row_multipass_kernelILj256ELj16ELj4EiiEEvT3_S1_S1_S1_S1_21rocsparse_index_base_PKT2_PKS1_S2_PS3_,@function
_ZN9rocsparseL46csr2bsr_nnz_wavefront_per_row_multipass_kernelILj256ELj16ELj4EiiEEvT3_S1_S1_S1_S1_21rocsparse_index_base_PKT2_PKS1_S2_PS3_: ; @_ZN9rocsparseL46csr2bsr_nnz_wavefront_per_row_multipass_kernelILj256ELj16ELj4EiiEEvT3_S1_S1_S1_S1_21rocsparse_index_base_PKT2_PKS1_S2_PS3_
; %bb.0:
	s_load_dword s7, s[4:5], 0x0
	s_load_dwordx4 s[8:11], s[4:5], 0x8
	s_load_dwordx2 s[2:3], s[4:5], 0x18
	v_lshrrev_b32_e32 v5, 4, v0
	v_bfe_u32 v7, v0, 2, 2
	v_lshl_or_b32 v1, s6, 4, v5
	s_waitcnt lgkmcnt(0)
	v_mad_u64_u32 v[2:3], s[0:1], v1, s10, v[7:8]
	v_cmp_gt_i32_e64 s[0:1], s10, v7
	v_lshlrev_b32_e32 v4, 2, v5
	v_cmp_gt_i32_e32 vcc, s7, v2
	v_mov_b32_e32 v6, 0
	s_and_b64 s[0:1], s[0:1], vcc
	v_mov_b32_e32 v15, 0
	ds_write_b32 v4, v6
	s_waitcnt lgkmcnt(0)
	s_barrier
	s_and_saveexec_b64 s[6:7], s[0:1]
	s_cbranch_execz .LBB2_2
; %bb.1:
	v_ashrrev_i32_e32 v3, 31, v2
	v_lshlrev_b64 v[7:8], 2, v[2:3]
	v_mov_b32_e32 v3, s3
	v_add_co_u32_e32 v7, vcc, s2, v7
	v_addc_co_u32_e32 v8, vcc, v3, v8, vcc
	global_load_dword v3, v[7:8], off
	s_waitcnt vmcnt(0)
	v_subrev_u32_e32 v15, s11, v3
.LBB2_2:
	s_or_b64 exec, exec, s[6:7]
	s_and_saveexec_b64 s[6:7], s[0:1]
	s_cbranch_execz .LBB2_4
; %bb.3:
	v_ashrrev_i32_e32 v3, 31, v2
	v_lshlrev_b64 v[2:3], 2, v[2:3]
	v_mov_b32_e32 v6, s3
	v_add_co_u32_e32 v2, vcc, s2, v2
	v_addc_co_u32_e32 v3, vcc, v6, v3, vcc
	global_load_dword v2, v[2:3], off offset:4
	s_waitcnt vmcnt(0)
	v_subrev_u32_e32 v6, s11, v2
.LBB2_4:
	s_or_b64 exec, exec, s[6:7]
	v_and_b32_e32 v7, 15, v0
	s_cmp_lt_i32 s9, 1
	v_cmp_eq_u32_e32 vcc, 0, v7
	s_cbranch_scc1 .LBB2_18
; %bb.5:
	s_abs_i32 s18, s10
	v_cvt_f32_u32_e32 v2, s18
	s_sub_i32 s0, 0, s18
	s_load_dwordx2 s[6:7], s[4:5], 0x20
	v_mbcnt_lo_u32_b32 v3, -1, 0
	v_rcp_iflag_f32_e32 v2, v2
	v_mbcnt_hi_u32_b32 v3, -1, v3
	v_lshlrev_b32_e32 v3, 2, v3
	v_and_b32_e32 v0, 3, v0
	v_mul_f32_e32 v2, 0x4f7ffffe, v2
	v_cvt_u32_f32_e32 v2, v2
	s_ashr_i32 s10, s10, 31
	v_mov_b32_e32 v8, 0
	s_mov_b64 s[12:13], 0
	v_mul_lo_u32 v10, s0, v2
	v_mov_b32_e32 v9, 1
	v_or_b32_e32 v11, 60, v3
	v_mov_b32_e32 v14, 0
	v_mul_hi_u32 v12, v2, v10
	v_or_b32_e32 v10, 12, v3
	v_add_u32_e32 v12, v2, v12
	s_branch .LBB2_7
.LBB2_6:                                ;   in Loop: Header=BB2_7 Depth=1
	s_or_b64 exec, exec, s[0:1]
	v_mov_b32_dpp v2, v13 row_shr:1 row_mask:0xf bank_mask:0xf
	v_min_i32_e32 v2, v2, v13
	s_waitcnt lgkmcnt(0)
	s_nop 0
	v_mov_b32_dpp v3, v2 row_shr:2 row_mask:0xf bank_mask:0xf
	v_min_i32_e32 v2, v3, v2
	s_nop 1
	v_mov_b32_dpp v3, v2 row_shr:4 row_mask:0xf bank_mask:0xe
	v_min_i32_e32 v2, v3, v2
	s_nop 1
	v_mov_b32_dpp v3, v2 row_shr:8 row_mask:0xf bank_mask:0xc
	v_min_i32_e32 v2, v3, v2
	ds_bpermute_b32 v14, v11, v2
	s_waitcnt lgkmcnt(0)
	v_cmp_le_i32_e64 s[0:1], s9, v14
	s_or_b64 s[12:13], s[0:1], s[12:13]
	s_andn2_b64 exec, exec, s[12:13]
	s_cbranch_execz .LBB2_17
.LBB2_7:                                ; =>This Loop Header: Depth=1
                                        ;     Child Loop BB2_10 Depth 2
	v_add_u32_e32 v2, v15, v0
	v_cmp_lt_i32_e64 s[0:1], v2, v6
	v_mov_b32_e32 v13, s9
	v_mov_b32_e32 v15, v6
	ds_write_b8 v5, v8 offset:64
	s_waitcnt lgkmcnt(0)
	s_and_saveexec_b64 s[14:15], s[0:1]
	s_cbranch_execz .LBB2_15
; %bb.8:                                ;   in Loop: Header=BB2_7 Depth=1
	s_mov_b64 s[16:17], 0
	v_mov_b32_e32 v13, s9
	v_mov_b32_e32 v15, v6
	s_branch .LBB2_10
.LBB2_9:                                ;   in Loop: Header=BB2_10 Depth=2
	s_or_b64 exec, exec, s[2:3]
	v_add_u32_e32 v2, 4, v2
	v_cmp_ge_i32_e64 s[2:3], v2, v6
	s_xor_b64 s[0:1], s[0:1], -1
	s_or_b64 s[0:1], s[0:1], s[2:3]
	s_and_b64 s[0:1], exec, s[0:1]
	s_or_b64 s[16:17], s[0:1], s[16:17]
	s_andn2_b64 exec, exec, s[16:17]
	s_cbranch_execz .LBB2_14
.LBB2_10:                               ;   Parent Loop BB2_7 Depth=1
                                        ; =>  This Inner Loop Header: Depth=2
	v_ashrrev_i32_e32 v3, 31, v2
	v_lshlrev_b64 v[16:17], 2, v[2:3]
	v_mov_b32_e32 v3, s7
	v_add_co_u32_e64 v16, s[0:1], s6, v16
	v_addc_co_u32_e64 v17, s[0:1], v3, v17, s[0:1]
	global_load_dword v3, v[16:17], off
	s_waitcnt vmcnt(0)
	v_subrev_u32_e32 v3, s11, v3
	v_sub_u32_e32 v16, 0, v3
	v_max_i32_e32 v16, v3, v16
	v_mul_hi_u32 v17, v16, v12
	v_ashrrev_i32_e32 v3, 31, v3
	v_xor_b32_e32 v3, s10, v3
	v_mul_lo_u32 v18, v17, s18
	v_add_u32_e32 v19, 1, v17
	v_sub_u32_e32 v16, v16, v18
	v_cmp_le_u32_e64 s[0:1], s18, v16
	v_subrev_u32_e32 v18, s18, v16
	v_cndmask_b32_e64 v17, v17, v19, s[0:1]
	v_cndmask_b32_e64 v16, v16, v18, s[0:1]
	v_add_u32_e32 v18, 1, v17
	v_cmp_le_u32_e64 s[0:1], s18, v16
	v_cndmask_b32_e64 v16, v17, v18, s[0:1]
	v_xor_b32_e32 v16, v16, v3
	v_sub_u32_e32 v16, v16, v3
	v_cmp_eq_u32_e64 s[0:1], v16, v14
	v_cmp_ne_u32_e64 s[2:3], v16, v14
	v_mov_b32_e32 v3, v15
	s_and_saveexec_b64 s[20:21], s[2:3]
	s_xor_b64 s[2:3], exec, s[20:21]
; %bb.11:                               ;   in Loop: Header=BB2_10 Depth=2
	v_min_i32_e32 v13, v16, v13
                                        ; implicit-def: $vgpr3
; %bb.12:                               ;   in Loop: Header=BB2_10 Depth=2
	s_or_saveexec_b64 s[2:3], s[2:3]
	v_mov_b32_e32 v15, v2
	s_xor_b64 exec, exec, s[2:3]
	s_cbranch_execz .LBB2_9
; %bb.13:                               ;   in Loop: Header=BB2_10 Depth=2
	v_mov_b32_e32 v15, v3
	ds_write_b8 v5, v9 offset:64
	s_branch .LBB2_9
.LBB2_14:                               ;   in Loop: Header=BB2_7 Depth=1
	s_or_b64 exec, exec, s[16:17]
.LBB2_15:                               ;   in Loop: Header=BB2_7 Depth=1
	s_or_b64 exec, exec, s[14:15]
	v_mov_b32_dpp v2, v15 row_shr:1 row_mask:0xf bank_mask:0xf
	s_waitcnt lgkmcnt(0)
	v_min_i32_e32 v2, v2, v15
	ds_read_u8 v3, v5 offset:64
	s_nop 0
	v_mov_b32_dpp v14, v2 row_shr:2 row_mask:0xf bank_mask:0xf
	v_min_i32_e32 v2, v14, v2
	ds_bpermute_b32 v15, v10, v2
	s_waitcnt lgkmcnt(1)
	v_and_b32_e32 v2, 1, v3
	v_cmp_eq_u32_e64 s[0:1], 1, v2
	s_and_b64 s[2:3], vcc, s[0:1]
	s_and_saveexec_b64 s[0:1], s[2:3]
	s_cbranch_execz .LBB2_6
; %bb.16:                               ;   in Loop: Header=BB2_7 Depth=1
	ds_read_b32 v2, v4
	s_waitcnt lgkmcnt(0)
	v_add_u32_e32 v2, 1, v2
	ds_write_b32 v4, v2
	s_branch .LBB2_6
.LBB2_17:
	s_or_b64 exec, exec, s[12:13]
.LBB2_18:
	v_cmp_eq_u32_e32 vcc, 0, v7
	s_and_saveexec_b64 s[0:1], vcc
	s_cbranch_execz .LBB2_21
; %bb.19:
	s_load_dword s2, s[4:5], 0x28
	s_load_dwordx2 s[0:1], s[4:5], 0x30
	v_mov_b32_e32 v2, 0
	v_cmp_gt_u32_e32 vcc, s8, v1
	s_waitcnt lgkmcnt(0)
	v_mov_b32_e32 v0, s2
	global_store_dword v2, v0, s[0:1]
	s_and_b64 exec, exec, vcc
	s_cbranch_execz .LBB2_21
; %bb.20:
	ds_read_b32 v3, v4
	v_lshlrev_b64 v[0:1], 2, v[1:2]
	v_mov_b32_e32 v2, s1
	v_add_co_u32_e32 v0, vcc, s0, v0
	v_addc_co_u32_e32 v1, vcc, v2, v1, vcc
	s_waitcnt lgkmcnt(0)
	global_store_dword v[0:1], v3, off offset:4
.LBB2_21:
	s_endpgm
	.section	.rodata,"a",@progbits
	.p2align	6, 0x0
	.amdhsa_kernel _ZN9rocsparseL46csr2bsr_nnz_wavefront_per_row_multipass_kernelILj256ELj16ELj4EiiEEvT3_S1_S1_S1_S1_21rocsparse_index_base_PKT2_PKS1_S2_PS3_
		.amdhsa_group_segment_fixed_size 80
		.amdhsa_private_segment_fixed_size 0
		.amdhsa_kernarg_size 56
		.amdhsa_user_sgpr_count 6
		.amdhsa_user_sgpr_private_segment_buffer 1
		.amdhsa_user_sgpr_dispatch_ptr 0
		.amdhsa_user_sgpr_queue_ptr 0
		.amdhsa_user_sgpr_kernarg_segment_ptr 1
		.amdhsa_user_sgpr_dispatch_id 0
		.amdhsa_user_sgpr_flat_scratch_init 0
		.amdhsa_user_sgpr_private_segment_size 0
		.amdhsa_uses_dynamic_stack 0
		.amdhsa_system_sgpr_private_segment_wavefront_offset 0
		.amdhsa_system_sgpr_workgroup_id_x 1
		.amdhsa_system_sgpr_workgroup_id_y 0
		.amdhsa_system_sgpr_workgroup_id_z 0
		.amdhsa_system_sgpr_workgroup_info 0
		.amdhsa_system_vgpr_workitem_id 0
		.amdhsa_next_free_vgpr 20
		.amdhsa_next_free_sgpr 22
		.amdhsa_reserve_vcc 1
		.amdhsa_reserve_flat_scratch 0
		.amdhsa_float_round_mode_32 0
		.amdhsa_float_round_mode_16_64 0
		.amdhsa_float_denorm_mode_32 3
		.amdhsa_float_denorm_mode_16_64 3
		.amdhsa_dx10_clamp 1
		.amdhsa_ieee_mode 1
		.amdhsa_fp16_overflow 0
		.amdhsa_exception_fp_ieee_invalid_op 0
		.amdhsa_exception_fp_denorm_src 0
		.amdhsa_exception_fp_ieee_div_zero 0
		.amdhsa_exception_fp_ieee_overflow 0
		.amdhsa_exception_fp_ieee_underflow 0
		.amdhsa_exception_fp_ieee_inexact 0
		.amdhsa_exception_int_div_zero 0
	.end_amdhsa_kernel
	.section	.text._ZN9rocsparseL46csr2bsr_nnz_wavefront_per_row_multipass_kernelILj256ELj16ELj4EiiEEvT3_S1_S1_S1_S1_21rocsparse_index_base_PKT2_PKS1_S2_PS3_,"axG",@progbits,_ZN9rocsparseL46csr2bsr_nnz_wavefront_per_row_multipass_kernelILj256ELj16ELj4EiiEEvT3_S1_S1_S1_S1_21rocsparse_index_base_PKT2_PKS1_S2_PS3_,comdat
.Lfunc_end2:
	.size	_ZN9rocsparseL46csr2bsr_nnz_wavefront_per_row_multipass_kernelILj256ELj16ELj4EiiEEvT3_S1_S1_S1_S1_21rocsparse_index_base_PKT2_PKS1_S2_PS3_, .Lfunc_end2-_ZN9rocsparseL46csr2bsr_nnz_wavefront_per_row_multipass_kernelILj256ELj16ELj4EiiEEvT3_S1_S1_S1_S1_21rocsparse_index_base_PKT2_PKS1_S2_PS3_
                                        ; -- End function
	.set _ZN9rocsparseL46csr2bsr_nnz_wavefront_per_row_multipass_kernelILj256ELj16ELj4EiiEEvT3_S1_S1_S1_S1_21rocsparse_index_base_PKT2_PKS1_S2_PS3_.num_vgpr, 20
	.set _ZN9rocsparseL46csr2bsr_nnz_wavefront_per_row_multipass_kernelILj256ELj16ELj4EiiEEvT3_S1_S1_S1_S1_21rocsparse_index_base_PKT2_PKS1_S2_PS3_.num_agpr, 0
	.set _ZN9rocsparseL46csr2bsr_nnz_wavefront_per_row_multipass_kernelILj256ELj16ELj4EiiEEvT3_S1_S1_S1_S1_21rocsparse_index_base_PKT2_PKS1_S2_PS3_.numbered_sgpr, 22
	.set _ZN9rocsparseL46csr2bsr_nnz_wavefront_per_row_multipass_kernelILj256ELj16ELj4EiiEEvT3_S1_S1_S1_S1_21rocsparse_index_base_PKT2_PKS1_S2_PS3_.num_named_barrier, 0
	.set _ZN9rocsparseL46csr2bsr_nnz_wavefront_per_row_multipass_kernelILj256ELj16ELj4EiiEEvT3_S1_S1_S1_S1_21rocsparse_index_base_PKT2_PKS1_S2_PS3_.private_seg_size, 0
	.set _ZN9rocsparseL46csr2bsr_nnz_wavefront_per_row_multipass_kernelILj256ELj16ELj4EiiEEvT3_S1_S1_S1_S1_21rocsparse_index_base_PKT2_PKS1_S2_PS3_.uses_vcc, 1
	.set _ZN9rocsparseL46csr2bsr_nnz_wavefront_per_row_multipass_kernelILj256ELj16ELj4EiiEEvT3_S1_S1_S1_S1_21rocsparse_index_base_PKT2_PKS1_S2_PS3_.uses_flat_scratch, 0
	.set _ZN9rocsparseL46csr2bsr_nnz_wavefront_per_row_multipass_kernelILj256ELj16ELj4EiiEEvT3_S1_S1_S1_S1_21rocsparse_index_base_PKT2_PKS1_S2_PS3_.has_dyn_sized_stack, 0
	.set _ZN9rocsparseL46csr2bsr_nnz_wavefront_per_row_multipass_kernelILj256ELj16ELj4EiiEEvT3_S1_S1_S1_S1_21rocsparse_index_base_PKT2_PKS1_S2_PS3_.has_recursion, 0
	.set _ZN9rocsparseL46csr2bsr_nnz_wavefront_per_row_multipass_kernelILj256ELj16ELj4EiiEEvT3_S1_S1_S1_S1_21rocsparse_index_base_PKT2_PKS1_S2_PS3_.has_indirect_call, 0
	.section	.AMDGPU.csdata,"",@progbits
; Kernel info:
; codeLenInByte = 956
; TotalNumSgprs: 26
; NumVgprs: 20
; ScratchSize: 0
; MemoryBound: 0
; FloatMode: 240
; IeeeMode: 1
; LDSByteSize: 80 bytes/workgroup (compile time only)
; SGPRBlocks: 3
; VGPRBlocks: 4
; NumSGPRsForWavesPerEU: 26
; NumVGPRsForWavesPerEU: 20
; Occupancy: 10
; WaveLimiterHint : 0
; COMPUTE_PGM_RSRC2:SCRATCH_EN: 0
; COMPUTE_PGM_RSRC2:USER_SGPR: 6
; COMPUTE_PGM_RSRC2:TRAP_HANDLER: 0
; COMPUTE_PGM_RSRC2:TGID_X_EN: 1
; COMPUTE_PGM_RSRC2:TGID_Y_EN: 0
; COMPUTE_PGM_RSRC2:TGID_Z_EN: 0
; COMPUTE_PGM_RSRC2:TIDIG_COMP_CNT: 0
	.section	.text._ZN9rocsparseL46csr2bsr_nnz_wavefront_per_row_multipass_kernelILj256ELj64ELj8EiiEEvT3_S1_S1_S1_S1_21rocsparse_index_base_PKT2_PKS1_S2_PS3_,"axG",@progbits,_ZN9rocsparseL46csr2bsr_nnz_wavefront_per_row_multipass_kernelILj256ELj64ELj8EiiEEvT3_S1_S1_S1_S1_21rocsparse_index_base_PKT2_PKS1_S2_PS3_,comdat
	.globl	_ZN9rocsparseL46csr2bsr_nnz_wavefront_per_row_multipass_kernelILj256ELj64ELj8EiiEEvT3_S1_S1_S1_S1_21rocsparse_index_base_PKT2_PKS1_S2_PS3_ ; -- Begin function _ZN9rocsparseL46csr2bsr_nnz_wavefront_per_row_multipass_kernelILj256ELj64ELj8EiiEEvT3_S1_S1_S1_S1_21rocsparse_index_base_PKT2_PKS1_S2_PS3_
	.p2align	8
	.type	_ZN9rocsparseL46csr2bsr_nnz_wavefront_per_row_multipass_kernelILj256ELj64ELj8EiiEEvT3_S1_S1_S1_S1_21rocsparse_index_base_PKT2_PKS1_S2_PS3_,@function
_ZN9rocsparseL46csr2bsr_nnz_wavefront_per_row_multipass_kernelILj256ELj64ELj8EiiEEvT3_S1_S1_S1_S1_21rocsparse_index_base_PKT2_PKS1_S2_PS3_: ; @_ZN9rocsparseL46csr2bsr_nnz_wavefront_per_row_multipass_kernelILj256ELj64ELj8EiiEEvT3_S1_S1_S1_S1_21rocsparse_index_base_PKT2_PKS1_S2_PS3_
; %bb.0:
	s_load_dword s7, s[4:5], 0x0
	s_load_dwordx4 s[8:11], s[4:5], 0x8
	s_load_dwordx2 s[2:3], s[4:5], 0x18
	v_lshrrev_b32_e32 v5, 6, v0
	v_bfe_u32 v7, v0, 3, 3
	v_lshl_or_b32 v1, s6, 2, v5
	s_waitcnt lgkmcnt(0)
	v_mad_u64_u32 v[2:3], s[0:1], v1, s10, v[7:8]
	v_cmp_gt_i32_e64 s[0:1], s10, v7
	v_lshlrev_b32_e32 v4, 2, v5
	v_cmp_gt_i32_e32 vcc, s7, v2
	v_mov_b32_e32 v6, 0
	s_and_b64 s[0:1], s[0:1], vcc
	v_mov_b32_e32 v15, 0
	ds_write_b32 v4, v6
	s_waitcnt lgkmcnt(0)
	s_barrier
	s_and_saveexec_b64 s[6:7], s[0:1]
	s_cbranch_execz .LBB3_2
; %bb.1:
	v_ashrrev_i32_e32 v3, 31, v2
	v_lshlrev_b64 v[7:8], 2, v[2:3]
	v_mov_b32_e32 v3, s3
	v_add_co_u32_e32 v7, vcc, s2, v7
	v_addc_co_u32_e32 v8, vcc, v3, v8, vcc
	global_load_dword v3, v[7:8], off
	s_waitcnt vmcnt(0)
	v_subrev_u32_e32 v15, s11, v3
.LBB3_2:
	s_or_b64 exec, exec, s[6:7]
	s_and_saveexec_b64 s[6:7], s[0:1]
	s_cbranch_execz .LBB3_4
; %bb.3:
	v_ashrrev_i32_e32 v3, 31, v2
	v_lshlrev_b64 v[2:3], 2, v[2:3]
	v_mov_b32_e32 v6, s3
	v_add_co_u32_e32 v2, vcc, s2, v2
	v_addc_co_u32_e32 v3, vcc, v6, v3, vcc
	global_load_dword v2, v[2:3], off offset:4
	s_waitcnt vmcnt(0)
	v_subrev_u32_e32 v6, s11, v2
.LBB3_4:
	s_or_b64 exec, exec, s[6:7]
	v_and_b32_e32 v7, 63, v0
	s_cmp_lt_i32 s9, 1
	v_cmp_eq_u32_e32 vcc, 0, v7
	s_cbranch_scc1 .LBB3_18
; %bb.5:
	s_abs_i32 s18, s10
	v_cvt_f32_u32_e32 v2, s18
	s_sub_i32 s0, 0, s18
	s_load_dwordx2 s[6:7], s[4:5], 0x20
	v_mbcnt_lo_u32_b32 v3, -1, 0
	v_rcp_iflag_f32_e32 v2, v2
	v_mbcnt_hi_u32_b32 v3, -1, v3
	v_lshlrev_b32_e32 v3, 2, v3
	v_and_b32_e32 v0, 7, v0
	v_mul_f32_e32 v2, 0x4f7ffffe, v2
	v_cvt_u32_f32_e32 v2, v2
	s_ashr_i32 s10, s10, 31
	v_mov_b32_e32 v8, 0
	s_mov_b64 s[12:13], 0
	v_mul_lo_u32 v10, s0, v2
	v_mov_b32_e32 v9, 1
	v_or_b32_e32 v11, 0xfc, v3
	v_mov_b32_e32 v14, 0
	v_mul_hi_u32 v12, v2, v10
	v_or_b32_e32 v10, 28, v3
	v_add_u32_e32 v12, v2, v12
	s_branch .LBB3_7
.LBB3_6:                                ;   in Loop: Header=BB3_7 Depth=1
	s_or_b64 exec, exec, s[0:1]
	v_mov_b32_dpp v2, v13 row_shr:1 row_mask:0xf bank_mask:0xf
	v_min_i32_e32 v2, v2, v13
	s_waitcnt lgkmcnt(0)
	s_nop 0
	v_mov_b32_dpp v3, v2 row_shr:2 row_mask:0xf bank_mask:0xf
	v_min_i32_e32 v2, v3, v2
	s_nop 1
	v_mov_b32_dpp v3, v2 row_shr:4 row_mask:0xf bank_mask:0xe
	v_min_i32_e32 v2, v3, v2
	;; [unrolled: 3-line block ×3, first 2 shown]
	s_nop 1
	v_mov_b32_dpp v3, v2 row_bcast:15 row_mask:0xa bank_mask:0xf
	v_min_i32_e32 v2, v3, v2
	s_nop 1
	v_mov_b32_dpp v3, v2 row_bcast:31 row_mask:0xc bank_mask:0xf
	v_min_i32_e32 v2, v3, v2
	ds_bpermute_b32 v14, v11, v2
	s_waitcnt lgkmcnt(0)
	v_cmp_le_i32_e64 s[0:1], s9, v14
	s_or_b64 s[12:13], s[0:1], s[12:13]
	s_andn2_b64 exec, exec, s[12:13]
	s_cbranch_execz .LBB3_17
.LBB3_7:                                ; =>This Loop Header: Depth=1
                                        ;     Child Loop BB3_10 Depth 2
	v_add_u32_e32 v2, v15, v0
	v_cmp_lt_i32_e64 s[0:1], v2, v6
	v_mov_b32_e32 v13, s9
	v_mov_b32_e32 v15, v6
	ds_write_b8 v5, v8 offset:16
	s_waitcnt lgkmcnt(0)
	s_and_saveexec_b64 s[14:15], s[0:1]
	s_cbranch_execz .LBB3_15
; %bb.8:                                ;   in Loop: Header=BB3_7 Depth=1
	s_mov_b64 s[16:17], 0
	v_mov_b32_e32 v13, s9
	v_mov_b32_e32 v15, v6
	s_branch .LBB3_10
.LBB3_9:                                ;   in Loop: Header=BB3_10 Depth=2
	s_or_b64 exec, exec, s[2:3]
	v_add_u32_e32 v2, 8, v2
	v_cmp_ge_i32_e64 s[2:3], v2, v6
	s_xor_b64 s[0:1], s[0:1], -1
	s_or_b64 s[0:1], s[0:1], s[2:3]
	s_and_b64 s[0:1], exec, s[0:1]
	s_or_b64 s[16:17], s[0:1], s[16:17]
	s_andn2_b64 exec, exec, s[16:17]
	s_cbranch_execz .LBB3_14
.LBB3_10:                               ;   Parent Loop BB3_7 Depth=1
                                        ; =>  This Inner Loop Header: Depth=2
	v_ashrrev_i32_e32 v3, 31, v2
	v_lshlrev_b64 v[16:17], 2, v[2:3]
	v_mov_b32_e32 v3, s7
	v_add_co_u32_e64 v16, s[0:1], s6, v16
	v_addc_co_u32_e64 v17, s[0:1], v3, v17, s[0:1]
	global_load_dword v3, v[16:17], off
	s_waitcnt vmcnt(0)
	v_subrev_u32_e32 v3, s11, v3
	v_sub_u32_e32 v16, 0, v3
	v_max_i32_e32 v16, v3, v16
	v_mul_hi_u32 v17, v16, v12
	v_ashrrev_i32_e32 v3, 31, v3
	v_xor_b32_e32 v3, s10, v3
	v_mul_lo_u32 v18, v17, s18
	v_add_u32_e32 v19, 1, v17
	v_sub_u32_e32 v16, v16, v18
	v_cmp_le_u32_e64 s[0:1], s18, v16
	v_subrev_u32_e32 v18, s18, v16
	v_cndmask_b32_e64 v17, v17, v19, s[0:1]
	v_cndmask_b32_e64 v16, v16, v18, s[0:1]
	v_add_u32_e32 v18, 1, v17
	v_cmp_le_u32_e64 s[0:1], s18, v16
	v_cndmask_b32_e64 v16, v17, v18, s[0:1]
	v_xor_b32_e32 v16, v16, v3
	v_sub_u32_e32 v16, v16, v3
	v_cmp_eq_u32_e64 s[0:1], v16, v14
	v_cmp_ne_u32_e64 s[2:3], v16, v14
	v_mov_b32_e32 v3, v15
	s_and_saveexec_b64 s[20:21], s[2:3]
	s_xor_b64 s[2:3], exec, s[20:21]
; %bb.11:                               ;   in Loop: Header=BB3_10 Depth=2
	v_min_i32_e32 v13, v16, v13
                                        ; implicit-def: $vgpr3
; %bb.12:                               ;   in Loop: Header=BB3_10 Depth=2
	s_or_saveexec_b64 s[2:3], s[2:3]
	v_mov_b32_e32 v15, v2
	s_xor_b64 exec, exec, s[2:3]
	s_cbranch_execz .LBB3_9
; %bb.13:                               ;   in Loop: Header=BB3_10 Depth=2
	v_mov_b32_e32 v15, v3
	ds_write_b8 v5, v9 offset:16
	s_branch .LBB3_9
.LBB3_14:                               ;   in Loop: Header=BB3_7 Depth=1
	s_or_b64 exec, exec, s[16:17]
.LBB3_15:                               ;   in Loop: Header=BB3_7 Depth=1
	s_or_b64 exec, exec, s[14:15]
	v_mov_b32_dpp v2, v15 row_shr:1 row_mask:0xf bank_mask:0xf
	v_min_i32_e32 v2, v2, v15
	s_waitcnt lgkmcnt(0)
	s_nop 0
	v_mov_b32_dpp v3, v2 row_shr:2 row_mask:0xf bank_mask:0xf
	v_min_i32_e32 v2, v3, v2
	ds_read_u8 v3, v5 offset:16
	s_nop 0
	v_mov_b32_dpp v14, v2 row_shr:4 row_mask:0xf bank_mask:0xe
	v_min_i32_e32 v2, v14, v2
	ds_bpermute_b32 v15, v10, v2
	s_waitcnt lgkmcnt(1)
	v_and_b32_e32 v2, 1, v3
	v_cmp_eq_u32_e64 s[0:1], 1, v2
	s_and_b64 s[2:3], vcc, s[0:1]
	s_and_saveexec_b64 s[0:1], s[2:3]
	s_cbranch_execz .LBB3_6
; %bb.16:                               ;   in Loop: Header=BB3_7 Depth=1
	ds_read_b32 v2, v4
	s_waitcnt lgkmcnt(0)
	v_add_u32_e32 v2, 1, v2
	ds_write_b32 v4, v2
	s_branch .LBB3_6
.LBB3_17:
	s_or_b64 exec, exec, s[12:13]
.LBB3_18:
	v_cmp_eq_u32_e32 vcc, 0, v7
	s_and_saveexec_b64 s[0:1], vcc
	s_cbranch_execz .LBB3_21
; %bb.19:
	s_load_dword s2, s[4:5], 0x28
	s_load_dwordx2 s[0:1], s[4:5], 0x30
	v_mov_b32_e32 v2, 0
	v_cmp_gt_u32_e32 vcc, s8, v1
	s_waitcnt lgkmcnt(0)
	v_mov_b32_e32 v0, s2
	global_store_dword v2, v0, s[0:1]
	s_and_b64 exec, exec, vcc
	s_cbranch_execz .LBB3_21
; %bb.20:
	ds_read_b32 v3, v4
	v_lshlrev_b64 v[0:1], 2, v[1:2]
	v_mov_b32_e32 v2, s1
	v_add_co_u32_e32 v0, vcc, s0, v0
	v_addc_co_u32_e32 v1, vcc, v2, v1, vcc
	s_waitcnt lgkmcnt(0)
	global_store_dword v[0:1], v3, off offset:4
.LBB3_21:
	s_endpgm
	.section	.rodata,"a",@progbits
	.p2align	6, 0x0
	.amdhsa_kernel _ZN9rocsparseL46csr2bsr_nnz_wavefront_per_row_multipass_kernelILj256ELj64ELj8EiiEEvT3_S1_S1_S1_S1_21rocsparse_index_base_PKT2_PKS1_S2_PS3_
		.amdhsa_group_segment_fixed_size 20
		.amdhsa_private_segment_fixed_size 0
		.amdhsa_kernarg_size 56
		.amdhsa_user_sgpr_count 6
		.amdhsa_user_sgpr_private_segment_buffer 1
		.amdhsa_user_sgpr_dispatch_ptr 0
		.amdhsa_user_sgpr_queue_ptr 0
		.amdhsa_user_sgpr_kernarg_segment_ptr 1
		.amdhsa_user_sgpr_dispatch_id 0
		.amdhsa_user_sgpr_flat_scratch_init 0
		.amdhsa_user_sgpr_private_segment_size 0
		.amdhsa_uses_dynamic_stack 0
		.amdhsa_system_sgpr_private_segment_wavefront_offset 0
		.amdhsa_system_sgpr_workgroup_id_x 1
		.amdhsa_system_sgpr_workgroup_id_y 0
		.amdhsa_system_sgpr_workgroup_id_z 0
		.amdhsa_system_sgpr_workgroup_info 0
		.amdhsa_system_vgpr_workitem_id 0
		.amdhsa_next_free_vgpr 20
		.amdhsa_next_free_sgpr 22
		.amdhsa_reserve_vcc 1
		.amdhsa_reserve_flat_scratch 0
		.amdhsa_float_round_mode_32 0
		.amdhsa_float_round_mode_16_64 0
		.amdhsa_float_denorm_mode_32 3
		.amdhsa_float_denorm_mode_16_64 3
		.amdhsa_dx10_clamp 1
		.amdhsa_ieee_mode 1
		.amdhsa_fp16_overflow 0
		.amdhsa_exception_fp_ieee_invalid_op 0
		.amdhsa_exception_fp_denorm_src 0
		.amdhsa_exception_fp_ieee_div_zero 0
		.amdhsa_exception_fp_ieee_overflow 0
		.amdhsa_exception_fp_ieee_underflow 0
		.amdhsa_exception_fp_ieee_inexact 0
		.amdhsa_exception_int_div_zero 0
	.end_amdhsa_kernel
	.section	.text._ZN9rocsparseL46csr2bsr_nnz_wavefront_per_row_multipass_kernelILj256ELj64ELj8EiiEEvT3_S1_S1_S1_S1_21rocsparse_index_base_PKT2_PKS1_S2_PS3_,"axG",@progbits,_ZN9rocsparseL46csr2bsr_nnz_wavefront_per_row_multipass_kernelILj256ELj64ELj8EiiEEvT3_S1_S1_S1_S1_21rocsparse_index_base_PKT2_PKS1_S2_PS3_,comdat
.Lfunc_end3:
	.size	_ZN9rocsparseL46csr2bsr_nnz_wavefront_per_row_multipass_kernelILj256ELj64ELj8EiiEEvT3_S1_S1_S1_S1_21rocsparse_index_base_PKT2_PKS1_S2_PS3_, .Lfunc_end3-_ZN9rocsparseL46csr2bsr_nnz_wavefront_per_row_multipass_kernelILj256ELj64ELj8EiiEEvT3_S1_S1_S1_S1_21rocsparse_index_base_PKT2_PKS1_S2_PS3_
                                        ; -- End function
	.set _ZN9rocsparseL46csr2bsr_nnz_wavefront_per_row_multipass_kernelILj256ELj64ELj8EiiEEvT3_S1_S1_S1_S1_21rocsparse_index_base_PKT2_PKS1_S2_PS3_.num_vgpr, 20
	.set _ZN9rocsparseL46csr2bsr_nnz_wavefront_per_row_multipass_kernelILj256ELj64ELj8EiiEEvT3_S1_S1_S1_S1_21rocsparse_index_base_PKT2_PKS1_S2_PS3_.num_agpr, 0
	.set _ZN9rocsparseL46csr2bsr_nnz_wavefront_per_row_multipass_kernelILj256ELj64ELj8EiiEEvT3_S1_S1_S1_S1_21rocsparse_index_base_PKT2_PKS1_S2_PS3_.numbered_sgpr, 22
	.set _ZN9rocsparseL46csr2bsr_nnz_wavefront_per_row_multipass_kernelILj256ELj64ELj8EiiEEvT3_S1_S1_S1_S1_21rocsparse_index_base_PKT2_PKS1_S2_PS3_.num_named_barrier, 0
	.set _ZN9rocsparseL46csr2bsr_nnz_wavefront_per_row_multipass_kernelILj256ELj64ELj8EiiEEvT3_S1_S1_S1_S1_21rocsparse_index_base_PKT2_PKS1_S2_PS3_.private_seg_size, 0
	.set _ZN9rocsparseL46csr2bsr_nnz_wavefront_per_row_multipass_kernelILj256ELj64ELj8EiiEEvT3_S1_S1_S1_S1_21rocsparse_index_base_PKT2_PKS1_S2_PS3_.uses_vcc, 1
	.set _ZN9rocsparseL46csr2bsr_nnz_wavefront_per_row_multipass_kernelILj256ELj64ELj8EiiEEvT3_S1_S1_S1_S1_21rocsparse_index_base_PKT2_PKS1_S2_PS3_.uses_flat_scratch, 0
	.set _ZN9rocsparseL46csr2bsr_nnz_wavefront_per_row_multipass_kernelILj256ELj64ELj8EiiEEvT3_S1_S1_S1_S1_21rocsparse_index_base_PKT2_PKS1_S2_PS3_.has_dyn_sized_stack, 0
	.set _ZN9rocsparseL46csr2bsr_nnz_wavefront_per_row_multipass_kernelILj256ELj64ELj8EiiEEvT3_S1_S1_S1_S1_21rocsparse_index_base_PKT2_PKS1_S2_PS3_.has_recursion, 0
	.set _ZN9rocsparseL46csr2bsr_nnz_wavefront_per_row_multipass_kernelILj256ELj64ELj8EiiEEvT3_S1_S1_S1_S1_21rocsparse_index_base_PKT2_PKS1_S2_PS3_.has_indirect_call, 0
	.section	.AMDGPU.csdata,"",@progbits
; Kernel info:
; codeLenInByte = 1008
; TotalNumSgprs: 26
; NumVgprs: 20
; ScratchSize: 0
; MemoryBound: 0
; FloatMode: 240
; IeeeMode: 1
; LDSByteSize: 20 bytes/workgroup (compile time only)
; SGPRBlocks: 3
; VGPRBlocks: 4
; NumSGPRsForWavesPerEU: 26
; NumVGPRsForWavesPerEU: 20
; Occupancy: 10
; WaveLimiterHint : 0
; COMPUTE_PGM_RSRC2:SCRATCH_EN: 0
; COMPUTE_PGM_RSRC2:USER_SGPR: 6
; COMPUTE_PGM_RSRC2:TRAP_HANDLER: 0
; COMPUTE_PGM_RSRC2:TGID_X_EN: 1
; COMPUTE_PGM_RSRC2:TGID_Y_EN: 0
; COMPUTE_PGM_RSRC2:TGID_Z_EN: 0
; COMPUTE_PGM_RSRC2:TIDIG_COMP_CNT: 0
	.section	.text._ZN9rocsparseL46csr2bsr_nnz_wavefront_per_row_multipass_kernelILj256ELj32ELj8EiiEEvT3_S1_S1_S1_S1_21rocsparse_index_base_PKT2_PKS1_S2_PS3_,"axG",@progbits,_ZN9rocsparseL46csr2bsr_nnz_wavefront_per_row_multipass_kernelILj256ELj32ELj8EiiEEvT3_S1_S1_S1_S1_21rocsparse_index_base_PKT2_PKS1_S2_PS3_,comdat
	.globl	_ZN9rocsparseL46csr2bsr_nnz_wavefront_per_row_multipass_kernelILj256ELj32ELj8EiiEEvT3_S1_S1_S1_S1_21rocsparse_index_base_PKT2_PKS1_S2_PS3_ ; -- Begin function _ZN9rocsparseL46csr2bsr_nnz_wavefront_per_row_multipass_kernelILj256ELj32ELj8EiiEEvT3_S1_S1_S1_S1_21rocsparse_index_base_PKT2_PKS1_S2_PS3_
	.p2align	8
	.type	_ZN9rocsparseL46csr2bsr_nnz_wavefront_per_row_multipass_kernelILj256ELj32ELj8EiiEEvT3_S1_S1_S1_S1_21rocsparse_index_base_PKT2_PKS1_S2_PS3_,@function
_ZN9rocsparseL46csr2bsr_nnz_wavefront_per_row_multipass_kernelILj256ELj32ELj8EiiEEvT3_S1_S1_S1_S1_21rocsparse_index_base_PKT2_PKS1_S2_PS3_: ; @_ZN9rocsparseL46csr2bsr_nnz_wavefront_per_row_multipass_kernelILj256ELj32ELj8EiiEEvT3_S1_S1_S1_S1_21rocsparse_index_base_PKT2_PKS1_S2_PS3_
; %bb.0:
	s_load_dword s7, s[4:5], 0x0
	s_load_dwordx4 s[8:11], s[4:5], 0x8
	s_load_dwordx2 s[2:3], s[4:5], 0x18
	v_lshrrev_b32_e32 v5, 5, v0
	v_bfe_u32 v7, v0, 2, 3
	v_lshl_or_b32 v1, s6, 3, v5
	s_waitcnt lgkmcnt(0)
	v_mad_u64_u32 v[2:3], s[0:1], v1, s10, v[7:8]
	v_cmp_gt_i32_e64 s[0:1], s10, v7
	v_lshlrev_b32_e32 v4, 2, v5
	v_cmp_gt_i32_e32 vcc, s7, v2
	v_mov_b32_e32 v6, 0
	s_and_b64 s[0:1], s[0:1], vcc
	v_mov_b32_e32 v15, 0
	ds_write_b32 v4, v6
	s_waitcnt lgkmcnt(0)
	s_barrier
	s_and_saveexec_b64 s[6:7], s[0:1]
	s_cbranch_execz .LBB4_2
; %bb.1:
	v_ashrrev_i32_e32 v3, 31, v2
	v_lshlrev_b64 v[7:8], 2, v[2:3]
	v_mov_b32_e32 v3, s3
	v_add_co_u32_e32 v7, vcc, s2, v7
	v_addc_co_u32_e32 v8, vcc, v3, v8, vcc
	global_load_dword v3, v[7:8], off
	s_waitcnt vmcnt(0)
	v_subrev_u32_e32 v15, s11, v3
.LBB4_2:
	s_or_b64 exec, exec, s[6:7]
	s_and_saveexec_b64 s[6:7], s[0:1]
	s_cbranch_execz .LBB4_4
; %bb.3:
	v_ashrrev_i32_e32 v3, 31, v2
	v_lshlrev_b64 v[2:3], 2, v[2:3]
	v_mov_b32_e32 v6, s3
	v_add_co_u32_e32 v2, vcc, s2, v2
	v_addc_co_u32_e32 v3, vcc, v6, v3, vcc
	global_load_dword v2, v[2:3], off offset:4
	s_waitcnt vmcnt(0)
	v_subrev_u32_e32 v6, s11, v2
.LBB4_4:
	s_or_b64 exec, exec, s[6:7]
	v_and_b32_e32 v7, 31, v0
	s_cmp_lt_i32 s9, 1
	v_cmp_eq_u32_e32 vcc, 0, v7
	s_cbranch_scc1 .LBB4_18
; %bb.5:
	s_abs_i32 s18, s10
	v_cvt_f32_u32_e32 v2, s18
	s_sub_i32 s0, 0, s18
	s_load_dwordx2 s[6:7], s[4:5], 0x20
	v_mbcnt_lo_u32_b32 v3, -1, 0
	v_rcp_iflag_f32_e32 v2, v2
	v_mbcnt_hi_u32_b32 v3, -1, v3
	v_lshlrev_b32_e32 v3, 2, v3
	v_and_b32_e32 v0, 3, v0
	v_mul_f32_e32 v2, 0x4f7ffffe, v2
	v_cvt_u32_f32_e32 v2, v2
	s_ashr_i32 s10, s10, 31
	v_mov_b32_e32 v8, 0
	s_mov_b64 s[12:13], 0
	v_mul_lo_u32 v10, s0, v2
	v_mov_b32_e32 v9, 1
	v_or_b32_e32 v11, 0x7c, v3
	v_mov_b32_e32 v14, 0
	v_mul_hi_u32 v12, v2, v10
	v_or_b32_e32 v10, 12, v3
	v_add_u32_e32 v12, v2, v12
	s_branch .LBB4_7
.LBB4_6:                                ;   in Loop: Header=BB4_7 Depth=1
	s_or_b64 exec, exec, s[0:1]
	v_mov_b32_dpp v2, v13 row_shr:1 row_mask:0xf bank_mask:0xf
	v_min_i32_e32 v2, v2, v13
	s_waitcnt lgkmcnt(0)
	s_nop 0
	v_mov_b32_dpp v3, v2 row_shr:2 row_mask:0xf bank_mask:0xf
	v_min_i32_e32 v2, v3, v2
	s_nop 1
	v_mov_b32_dpp v3, v2 row_shr:4 row_mask:0xf bank_mask:0xe
	v_min_i32_e32 v2, v3, v2
	s_nop 1
	v_mov_b32_dpp v3, v2 row_shr:8 row_mask:0xf bank_mask:0xc
	v_min_i32_e32 v2, v3, v2
	s_nop 1
	v_mov_b32_dpp v3, v2 row_bcast:15 row_mask:0xa bank_mask:0xf
	v_min_i32_e32 v2, v3, v2
	ds_bpermute_b32 v14, v11, v2
	s_waitcnt lgkmcnt(0)
	v_cmp_le_i32_e64 s[0:1], s9, v14
	s_or_b64 s[12:13], s[0:1], s[12:13]
	s_andn2_b64 exec, exec, s[12:13]
	s_cbranch_execz .LBB4_17
.LBB4_7:                                ; =>This Loop Header: Depth=1
                                        ;     Child Loop BB4_10 Depth 2
	v_add_u32_e32 v2, v15, v0
	v_cmp_lt_i32_e64 s[0:1], v2, v6
	v_mov_b32_e32 v13, s9
	v_mov_b32_e32 v15, v6
	ds_write_b8 v5, v8 offset:32
	s_waitcnt lgkmcnt(0)
	s_and_saveexec_b64 s[14:15], s[0:1]
	s_cbranch_execz .LBB4_15
; %bb.8:                                ;   in Loop: Header=BB4_7 Depth=1
	s_mov_b64 s[16:17], 0
	v_mov_b32_e32 v13, s9
	v_mov_b32_e32 v15, v6
	s_branch .LBB4_10
.LBB4_9:                                ;   in Loop: Header=BB4_10 Depth=2
	s_or_b64 exec, exec, s[2:3]
	v_add_u32_e32 v2, 4, v2
	v_cmp_ge_i32_e64 s[2:3], v2, v6
	s_xor_b64 s[0:1], s[0:1], -1
	s_or_b64 s[0:1], s[0:1], s[2:3]
	s_and_b64 s[0:1], exec, s[0:1]
	s_or_b64 s[16:17], s[0:1], s[16:17]
	s_andn2_b64 exec, exec, s[16:17]
	s_cbranch_execz .LBB4_14
.LBB4_10:                               ;   Parent Loop BB4_7 Depth=1
                                        ; =>  This Inner Loop Header: Depth=2
	v_ashrrev_i32_e32 v3, 31, v2
	v_lshlrev_b64 v[16:17], 2, v[2:3]
	v_mov_b32_e32 v3, s7
	v_add_co_u32_e64 v16, s[0:1], s6, v16
	v_addc_co_u32_e64 v17, s[0:1], v3, v17, s[0:1]
	global_load_dword v3, v[16:17], off
	s_waitcnt vmcnt(0)
	v_subrev_u32_e32 v3, s11, v3
	v_sub_u32_e32 v16, 0, v3
	v_max_i32_e32 v16, v3, v16
	v_mul_hi_u32 v17, v16, v12
	v_ashrrev_i32_e32 v3, 31, v3
	v_xor_b32_e32 v3, s10, v3
	v_mul_lo_u32 v18, v17, s18
	v_add_u32_e32 v19, 1, v17
	v_sub_u32_e32 v16, v16, v18
	v_cmp_le_u32_e64 s[0:1], s18, v16
	v_subrev_u32_e32 v18, s18, v16
	v_cndmask_b32_e64 v17, v17, v19, s[0:1]
	v_cndmask_b32_e64 v16, v16, v18, s[0:1]
	v_add_u32_e32 v18, 1, v17
	v_cmp_le_u32_e64 s[0:1], s18, v16
	v_cndmask_b32_e64 v16, v17, v18, s[0:1]
	v_xor_b32_e32 v16, v16, v3
	v_sub_u32_e32 v16, v16, v3
	v_cmp_eq_u32_e64 s[0:1], v16, v14
	v_cmp_ne_u32_e64 s[2:3], v16, v14
	v_mov_b32_e32 v3, v15
	s_and_saveexec_b64 s[20:21], s[2:3]
	s_xor_b64 s[2:3], exec, s[20:21]
; %bb.11:                               ;   in Loop: Header=BB4_10 Depth=2
	v_min_i32_e32 v13, v16, v13
                                        ; implicit-def: $vgpr3
; %bb.12:                               ;   in Loop: Header=BB4_10 Depth=2
	s_or_saveexec_b64 s[2:3], s[2:3]
	v_mov_b32_e32 v15, v2
	s_xor_b64 exec, exec, s[2:3]
	s_cbranch_execz .LBB4_9
; %bb.13:                               ;   in Loop: Header=BB4_10 Depth=2
	v_mov_b32_e32 v15, v3
	ds_write_b8 v5, v9 offset:32
	s_branch .LBB4_9
.LBB4_14:                               ;   in Loop: Header=BB4_7 Depth=1
	s_or_b64 exec, exec, s[16:17]
.LBB4_15:                               ;   in Loop: Header=BB4_7 Depth=1
	s_or_b64 exec, exec, s[14:15]
	v_mov_b32_dpp v2, v15 row_shr:1 row_mask:0xf bank_mask:0xf
	s_waitcnt lgkmcnt(0)
	v_min_i32_e32 v2, v2, v15
	ds_read_u8 v3, v5 offset:32
	s_nop 0
	v_mov_b32_dpp v14, v2 row_shr:2 row_mask:0xf bank_mask:0xf
	v_min_i32_e32 v2, v14, v2
	ds_bpermute_b32 v15, v10, v2
	s_waitcnt lgkmcnt(1)
	v_and_b32_e32 v2, 1, v3
	v_cmp_eq_u32_e64 s[0:1], 1, v2
	s_and_b64 s[2:3], vcc, s[0:1]
	s_and_saveexec_b64 s[0:1], s[2:3]
	s_cbranch_execz .LBB4_6
; %bb.16:                               ;   in Loop: Header=BB4_7 Depth=1
	ds_read_b32 v2, v4
	s_waitcnt lgkmcnt(0)
	v_add_u32_e32 v2, 1, v2
	ds_write_b32 v4, v2
	s_branch .LBB4_6
.LBB4_17:
	s_or_b64 exec, exec, s[12:13]
.LBB4_18:
	v_cmp_eq_u32_e32 vcc, 0, v7
	s_and_saveexec_b64 s[0:1], vcc
	s_cbranch_execz .LBB4_21
; %bb.19:
	s_load_dword s2, s[4:5], 0x28
	s_load_dwordx2 s[0:1], s[4:5], 0x30
	v_mov_b32_e32 v2, 0
	v_cmp_gt_u32_e32 vcc, s8, v1
	s_waitcnt lgkmcnt(0)
	v_mov_b32_e32 v0, s2
	global_store_dword v2, v0, s[0:1]
	s_and_b64 exec, exec, vcc
	s_cbranch_execz .LBB4_21
; %bb.20:
	ds_read_b32 v3, v4
	v_lshlrev_b64 v[0:1], 2, v[1:2]
	v_mov_b32_e32 v2, s1
	v_add_co_u32_e32 v0, vcc, s0, v0
	v_addc_co_u32_e32 v1, vcc, v2, v1, vcc
	s_waitcnt lgkmcnt(0)
	global_store_dword v[0:1], v3, off offset:4
.LBB4_21:
	s_endpgm
	.section	.rodata,"a",@progbits
	.p2align	6, 0x0
	.amdhsa_kernel _ZN9rocsparseL46csr2bsr_nnz_wavefront_per_row_multipass_kernelILj256ELj32ELj8EiiEEvT3_S1_S1_S1_S1_21rocsparse_index_base_PKT2_PKS1_S2_PS3_
		.amdhsa_group_segment_fixed_size 40
		.amdhsa_private_segment_fixed_size 0
		.amdhsa_kernarg_size 56
		.amdhsa_user_sgpr_count 6
		.amdhsa_user_sgpr_private_segment_buffer 1
		.amdhsa_user_sgpr_dispatch_ptr 0
		.amdhsa_user_sgpr_queue_ptr 0
		.amdhsa_user_sgpr_kernarg_segment_ptr 1
		.amdhsa_user_sgpr_dispatch_id 0
		.amdhsa_user_sgpr_flat_scratch_init 0
		.amdhsa_user_sgpr_private_segment_size 0
		.amdhsa_uses_dynamic_stack 0
		.amdhsa_system_sgpr_private_segment_wavefront_offset 0
		.amdhsa_system_sgpr_workgroup_id_x 1
		.amdhsa_system_sgpr_workgroup_id_y 0
		.amdhsa_system_sgpr_workgroup_id_z 0
		.amdhsa_system_sgpr_workgroup_info 0
		.amdhsa_system_vgpr_workitem_id 0
		.amdhsa_next_free_vgpr 20
		.amdhsa_next_free_sgpr 22
		.amdhsa_reserve_vcc 1
		.amdhsa_reserve_flat_scratch 0
		.amdhsa_float_round_mode_32 0
		.amdhsa_float_round_mode_16_64 0
		.amdhsa_float_denorm_mode_32 3
		.amdhsa_float_denorm_mode_16_64 3
		.amdhsa_dx10_clamp 1
		.amdhsa_ieee_mode 1
		.amdhsa_fp16_overflow 0
		.amdhsa_exception_fp_ieee_invalid_op 0
		.amdhsa_exception_fp_denorm_src 0
		.amdhsa_exception_fp_ieee_div_zero 0
		.amdhsa_exception_fp_ieee_overflow 0
		.amdhsa_exception_fp_ieee_underflow 0
		.amdhsa_exception_fp_ieee_inexact 0
		.amdhsa_exception_int_div_zero 0
	.end_amdhsa_kernel
	.section	.text._ZN9rocsparseL46csr2bsr_nnz_wavefront_per_row_multipass_kernelILj256ELj32ELj8EiiEEvT3_S1_S1_S1_S1_21rocsparse_index_base_PKT2_PKS1_S2_PS3_,"axG",@progbits,_ZN9rocsparseL46csr2bsr_nnz_wavefront_per_row_multipass_kernelILj256ELj32ELj8EiiEEvT3_S1_S1_S1_S1_21rocsparse_index_base_PKT2_PKS1_S2_PS3_,comdat
.Lfunc_end4:
	.size	_ZN9rocsparseL46csr2bsr_nnz_wavefront_per_row_multipass_kernelILj256ELj32ELj8EiiEEvT3_S1_S1_S1_S1_21rocsparse_index_base_PKT2_PKS1_S2_PS3_, .Lfunc_end4-_ZN9rocsparseL46csr2bsr_nnz_wavefront_per_row_multipass_kernelILj256ELj32ELj8EiiEEvT3_S1_S1_S1_S1_21rocsparse_index_base_PKT2_PKS1_S2_PS3_
                                        ; -- End function
	.set _ZN9rocsparseL46csr2bsr_nnz_wavefront_per_row_multipass_kernelILj256ELj32ELj8EiiEEvT3_S1_S1_S1_S1_21rocsparse_index_base_PKT2_PKS1_S2_PS3_.num_vgpr, 20
	.set _ZN9rocsparseL46csr2bsr_nnz_wavefront_per_row_multipass_kernelILj256ELj32ELj8EiiEEvT3_S1_S1_S1_S1_21rocsparse_index_base_PKT2_PKS1_S2_PS3_.num_agpr, 0
	.set _ZN9rocsparseL46csr2bsr_nnz_wavefront_per_row_multipass_kernelILj256ELj32ELj8EiiEEvT3_S1_S1_S1_S1_21rocsparse_index_base_PKT2_PKS1_S2_PS3_.numbered_sgpr, 22
	.set _ZN9rocsparseL46csr2bsr_nnz_wavefront_per_row_multipass_kernelILj256ELj32ELj8EiiEEvT3_S1_S1_S1_S1_21rocsparse_index_base_PKT2_PKS1_S2_PS3_.num_named_barrier, 0
	.set _ZN9rocsparseL46csr2bsr_nnz_wavefront_per_row_multipass_kernelILj256ELj32ELj8EiiEEvT3_S1_S1_S1_S1_21rocsparse_index_base_PKT2_PKS1_S2_PS3_.private_seg_size, 0
	.set _ZN9rocsparseL46csr2bsr_nnz_wavefront_per_row_multipass_kernelILj256ELj32ELj8EiiEEvT3_S1_S1_S1_S1_21rocsparse_index_base_PKT2_PKS1_S2_PS3_.uses_vcc, 1
	.set _ZN9rocsparseL46csr2bsr_nnz_wavefront_per_row_multipass_kernelILj256ELj32ELj8EiiEEvT3_S1_S1_S1_S1_21rocsparse_index_base_PKT2_PKS1_S2_PS3_.uses_flat_scratch, 0
	.set _ZN9rocsparseL46csr2bsr_nnz_wavefront_per_row_multipass_kernelILj256ELj32ELj8EiiEEvT3_S1_S1_S1_S1_21rocsparse_index_base_PKT2_PKS1_S2_PS3_.has_dyn_sized_stack, 0
	.set _ZN9rocsparseL46csr2bsr_nnz_wavefront_per_row_multipass_kernelILj256ELj32ELj8EiiEEvT3_S1_S1_S1_S1_21rocsparse_index_base_PKT2_PKS1_S2_PS3_.has_recursion, 0
	.set _ZN9rocsparseL46csr2bsr_nnz_wavefront_per_row_multipass_kernelILj256ELj32ELj8EiiEEvT3_S1_S1_S1_S1_21rocsparse_index_base_PKT2_PKS1_S2_PS3_.has_indirect_call, 0
	.section	.AMDGPU.csdata,"",@progbits
; Kernel info:
; codeLenInByte = 976
; TotalNumSgprs: 26
; NumVgprs: 20
; ScratchSize: 0
; MemoryBound: 0
; FloatMode: 240
; IeeeMode: 1
; LDSByteSize: 40 bytes/workgroup (compile time only)
; SGPRBlocks: 3
; VGPRBlocks: 4
; NumSGPRsForWavesPerEU: 26
; NumVGPRsForWavesPerEU: 20
; Occupancy: 10
; WaveLimiterHint : 0
; COMPUTE_PGM_RSRC2:SCRATCH_EN: 0
; COMPUTE_PGM_RSRC2:USER_SGPR: 6
; COMPUTE_PGM_RSRC2:TRAP_HANDLER: 0
; COMPUTE_PGM_RSRC2:TGID_X_EN: 1
; COMPUTE_PGM_RSRC2:TGID_Y_EN: 0
; COMPUTE_PGM_RSRC2:TGID_Z_EN: 0
; COMPUTE_PGM_RSRC2:TIDIG_COMP_CNT: 0
	.section	.text._ZN9rocsparseL46csr2bsr_nnz_wavefront_per_row_multipass_kernelILj256ELj64ELj16EiiEEvT3_S1_S1_S1_S1_21rocsparse_index_base_PKT2_PKS1_S2_PS3_,"axG",@progbits,_ZN9rocsparseL46csr2bsr_nnz_wavefront_per_row_multipass_kernelILj256ELj64ELj16EiiEEvT3_S1_S1_S1_S1_21rocsparse_index_base_PKT2_PKS1_S2_PS3_,comdat
	.globl	_ZN9rocsparseL46csr2bsr_nnz_wavefront_per_row_multipass_kernelILj256ELj64ELj16EiiEEvT3_S1_S1_S1_S1_21rocsparse_index_base_PKT2_PKS1_S2_PS3_ ; -- Begin function _ZN9rocsparseL46csr2bsr_nnz_wavefront_per_row_multipass_kernelILj256ELj64ELj16EiiEEvT3_S1_S1_S1_S1_21rocsparse_index_base_PKT2_PKS1_S2_PS3_
	.p2align	8
	.type	_ZN9rocsparseL46csr2bsr_nnz_wavefront_per_row_multipass_kernelILj256ELj64ELj16EiiEEvT3_S1_S1_S1_S1_21rocsparse_index_base_PKT2_PKS1_S2_PS3_,@function
_ZN9rocsparseL46csr2bsr_nnz_wavefront_per_row_multipass_kernelILj256ELj64ELj16EiiEEvT3_S1_S1_S1_S1_21rocsparse_index_base_PKT2_PKS1_S2_PS3_: ; @_ZN9rocsparseL46csr2bsr_nnz_wavefront_per_row_multipass_kernelILj256ELj64ELj16EiiEEvT3_S1_S1_S1_S1_21rocsparse_index_base_PKT2_PKS1_S2_PS3_
; %bb.0:
	s_load_dword s7, s[4:5], 0x0
	s_load_dwordx4 s[8:11], s[4:5], 0x8
	s_load_dwordx2 s[2:3], s[4:5], 0x18
	v_lshrrev_b32_e32 v5, 6, v0
	v_bfe_u32 v7, v0, 2, 4
	v_lshl_or_b32 v1, s6, 2, v5
	s_waitcnt lgkmcnt(0)
	v_mad_u64_u32 v[2:3], s[0:1], v1, s10, v[7:8]
	v_cmp_gt_i32_e64 s[0:1], s10, v7
	v_lshlrev_b32_e32 v4, 2, v5
	v_cmp_gt_i32_e32 vcc, s7, v2
	v_mov_b32_e32 v6, 0
	s_and_b64 s[0:1], s[0:1], vcc
	v_mov_b32_e32 v15, 0
	ds_write_b32 v4, v6
	s_waitcnt lgkmcnt(0)
	s_barrier
	s_and_saveexec_b64 s[6:7], s[0:1]
	s_cbranch_execz .LBB5_2
; %bb.1:
	v_ashrrev_i32_e32 v3, 31, v2
	v_lshlrev_b64 v[7:8], 2, v[2:3]
	v_mov_b32_e32 v3, s3
	v_add_co_u32_e32 v7, vcc, s2, v7
	v_addc_co_u32_e32 v8, vcc, v3, v8, vcc
	global_load_dword v3, v[7:8], off
	s_waitcnt vmcnt(0)
	v_subrev_u32_e32 v15, s11, v3
.LBB5_2:
	s_or_b64 exec, exec, s[6:7]
	s_and_saveexec_b64 s[6:7], s[0:1]
	s_cbranch_execz .LBB5_4
; %bb.3:
	v_ashrrev_i32_e32 v3, 31, v2
	v_lshlrev_b64 v[2:3], 2, v[2:3]
	v_mov_b32_e32 v6, s3
	v_add_co_u32_e32 v2, vcc, s2, v2
	v_addc_co_u32_e32 v3, vcc, v6, v3, vcc
	global_load_dword v2, v[2:3], off offset:4
	s_waitcnt vmcnt(0)
	v_subrev_u32_e32 v6, s11, v2
.LBB5_4:
	s_or_b64 exec, exec, s[6:7]
	v_and_b32_e32 v7, 63, v0
	s_cmp_lt_i32 s9, 1
	v_cmp_eq_u32_e32 vcc, 0, v7
	s_cbranch_scc1 .LBB5_18
; %bb.5:
	s_abs_i32 s18, s10
	v_cvt_f32_u32_e32 v2, s18
	s_sub_i32 s0, 0, s18
	s_load_dwordx2 s[6:7], s[4:5], 0x20
	v_mbcnt_lo_u32_b32 v3, -1, 0
	v_rcp_iflag_f32_e32 v2, v2
	v_mbcnt_hi_u32_b32 v3, -1, v3
	v_lshlrev_b32_e32 v3, 2, v3
	v_and_b32_e32 v0, 3, v0
	v_mul_f32_e32 v2, 0x4f7ffffe, v2
	v_cvt_u32_f32_e32 v2, v2
	s_ashr_i32 s10, s10, 31
	v_mov_b32_e32 v8, 0
	s_mov_b64 s[12:13], 0
	v_mul_lo_u32 v10, s0, v2
	v_mov_b32_e32 v9, 1
	v_or_b32_e32 v11, 0xfc, v3
	v_mov_b32_e32 v14, 0
	v_mul_hi_u32 v12, v2, v10
	v_or_b32_e32 v10, 12, v3
	v_add_u32_e32 v12, v2, v12
	s_branch .LBB5_7
.LBB5_6:                                ;   in Loop: Header=BB5_7 Depth=1
	s_or_b64 exec, exec, s[0:1]
	v_mov_b32_dpp v2, v13 row_shr:1 row_mask:0xf bank_mask:0xf
	v_min_i32_e32 v2, v2, v13
	s_waitcnt lgkmcnt(0)
	s_nop 0
	v_mov_b32_dpp v3, v2 row_shr:2 row_mask:0xf bank_mask:0xf
	v_min_i32_e32 v2, v3, v2
	s_nop 1
	v_mov_b32_dpp v3, v2 row_shr:4 row_mask:0xf bank_mask:0xe
	v_min_i32_e32 v2, v3, v2
	;; [unrolled: 3-line block ×3, first 2 shown]
	s_nop 1
	v_mov_b32_dpp v3, v2 row_bcast:15 row_mask:0xa bank_mask:0xf
	v_min_i32_e32 v2, v3, v2
	s_nop 1
	v_mov_b32_dpp v3, v2 row_bcast:31 row_mask:0xc bank_mask:0xf
	v_min_i32_e32 v2, v3, v2
	ds_bpermute_b32 v14, v11, v2
	s_waitcnt lgkmcnt(0)
	v_cmp_le_i32_e64 s[0:1], s9, v14
	s_or_b64 s[12:13], s[0:1], s[12:13]
	s_andn2_b64 exec, exec, s[12:13]
	s_cbranch_execz .LBB5_17
.LBB5_7:                                ; =>This Loop Header: Depth=1
                                        ;     Child Loop BB5_10 Depth 2
	v_add_u32_e32 v2, v15, v0
	v_cmp_lt_i32_e64 s[0:1], v2, v6
	v_mov_b32_e32 v13, s9
	v_mov_b32_e32 v15, v6
	ds_write_b8 v5, v8 offset:16
	s_waitcnt lgkmcnt(0)
	s_and_saveexec_b64 s[14:15], s[0:1]
	s_cbranch_execz .LBB5_15
; %bb.8:                                ;   in Loop: Header=BB5_7 Depth=1
	s_mov_b64 s[16:17], 0
	v_mov_b32_e32 v13, s9
	v_mov_b32_e32 v15, v6
	s_branch .LBB5_10
.LBB5_9:                                ;   in Loop: Header=BB5_10 Depth=2
	s_or_b64 exec, exec, s[2:3]
	v_add_u32_e32 v2, 4, v2
	v_cmp_ge_i32_e64 s[2:3], v2, v6
	s_xor_b64 s[0:1], s[0:1], -1
	s_or_b64 s[0:1], s[0:1], s[2:3]
	s_and_b64 s[0:1], exec, s[0:1]
	s_or_b64 s[16:17], s[0:1], s[16:17]
	s_andn2_b64 exec, exec, s[16:17]
	s_cbranch_execz .LBB5_14
.LBB5_10:                               ;   Parent Loop BB5_7 Depth=1
                                        ; =>  This Inner Loop Header: Depth=2
	v_ashrrev_i32_e32 v3, 31, v2
	v_lshlrev_b64 v[16:17], 2, v[2:3]
	v_mov_b32_e32 v3, s7
	v_add_co_u32_e64 v16, s[0:1], s6, v16
	v_addc_co_u32_e64 v17, s[0:1], v3, v17, s[0:1]
	global_load_dword v3, v[16:17], off
	s_waitcnt vmcnt(0)
	v_subrev_u32_e32 v3, s11, v3
	v_sub_u32_e32 v16, 0, v3
	v_max_i32_e32 v16, v3, v16
	v_mul_hi_u32 v17, v16, v12
	v_ashrrev_i32_e32 v3, 31, v3
	v_xor_b32_e32 v3, s10, v3
	v_mul_lo_u32 v18, v17, s18
	v_add_u32_e32 v19, 1, v17
	v_sub_u32_e32 v16, v16, v18
	v_cmp_le_u32_e64 s[0:1], s18, v16
	v_subrev_u32_e32 v18, s18, v16
	v_cndmask_b32_e64 v17, v17, v19, s[0:1]
	v_cndmask_b32_e64 v16, v16, v18, s[0:1]
	v_add_u32_e32 v18, 1, v17
	v_cmp_le_u32_e64 s[0:1], s18, v16
	v_cndmask_b32_e64 v16, v17, v18, s[0:1]
	v_xor_b32_e32 v16, v16, v3
	v_sub_u32_e32 v16, v16, v3
	v_cmp_eq_u32_e64 s[0:1], v16, v14
	v_cmp_ne_u32_e64 s[2:3], v16, v14
	v_mov_b32_e32 v3, v15
	s_and_saveexec_b64 s[20:21], s[2:3]
	s_xor_b64 s[2:3], exec, s[20:21]
; %bb.11:                               ;   in Loop: Header=BB5_10 Depth=2
	v_min_i32_e32 v13, v16, v13
                                        ; implicit-def: $vgpr3
; %bb.12:                               ;   in Loop: Header=BB5_10 Depth=2
	s_or_saveexec_b64 s[2:3], s[2:3]
	v_mov_b32_e32 v15, v2
	s_xor_b64 exec, exec, s[2:3]
	s_cbranch_execz .LBB5_9
; %bb.13:                               ;   in Loop: Header=BB5_10 Depth=2
	v_mov_b32_e32 v15, v3
	ds_write_b8 v5, v9 offset:16
	s_branch .LBB5_9
.LBB5_14:                               ;   in Loop: Header=BB5_7 Depth=1
	s_or_b64 exec, exec, s[16:17]
.LBB5_15:                               ;   in Loop: Header=BB5_7 Depth=1
	s_or_b64 exec, exec, s[14:15]
	v_mov_b32_dpp v2, v15 row_shr:1 row_mask:0xf bank_mask:0xf
	s_waitcnt lgkmcnt(0)
	v_min_i32_e32 v2, v2, v15
	ds_read_u8 v3, v5 offset:16
	s_nop 0
	v_mov_b32_dpp v14, v2 row_shr:2 row_mask:0xf bank_mask:0xf
	v_min_i32_e32 v2, v14, v2
	ds_bpermute_b32 v15, v10, v2
	s_waitcnt lgkmcnt(1)
	v_and_b32_e32 v2, 1, v3
	v_cmp_eq_u32_e64 s[0:1], 1, v2
	s_and_b64 s[2:3], vcc, s[0:1]
	s_and_saveexec_b64 s[0:1], s[2:3]
	s_cbranch_execz .LBB5_6
; %bb.16:                               ;   in Loop: Header=BB5_7 Depth=1
	ds_read_b32 v2, v4
	s_waitcnt lgkmcnt(0)
	v_add_u32_e32 v2, 1, v2
	ds_write_b32 v4, v2
	s_branch .LBB5_6
.LBB5_17:
	s_or_b64 exec, exec, s[12:13]
.LBB5_18:
	v_cmp_eq_u32_e32 vcc, 0, v7
	s_and_saveexec_b64 s[0:1], vcc
	s_cbranch_execz .LBB5_21
; %bb.19:
	s_load_dword s2, s[4:5], 0x28
	s_load_dwordx2 s[0:1], s[4:5], 0x30
	v_mov_b32_e32 v2, 0
	v_cmp_gt_u32_e32 vcc, s8, v1
	s_waitcnt lgkmcnt(0)
	v_mov_b32_e32 v0, s2
	global_store_dword v2, v0, s[0:1]
	s_and_b64 exec, exec, vcc
	s_cbranch_execz .LBB5_21
; %bb.20:
	ds_read_b32 v3, v4
	v_lshlrev_b64 v[0:1], 2, v[1:2]
	v_mov_b32_e32 v2, s1
	v_add_co_u32_e32 v0, vcc, s0, v0
	v_addc_co_u32_e32 v1, vcc, v2, v1, vcc
	s_waitcnt lgkmcnt(0)
	global_store_dword v[0:1], v3, off offset:4
.LBB5_21:
	s_endpgm
	.section	.rodata,"a",@progbits
	.p2align	6, 0x0
	.amdhsa_kernel _ZN9rocsparseL46csr2bsr_nnz_wavefront_per_row_multipass_kernelILj256ELj64ELj16EiiEEvT3_S1_S1_S1_S1_21rocsparse_index_base_PKT2_PKS1_S2_PS3_
		.amdhsa_group_segment_fixed_size 20
		.amdhsa_private_segment_fixed_size 0
		.amdhsa_kernarg_size 56
		.amdhsa_user_sgpr_count 6
		.amdhsa_user_sgpr_private_segment_buffer 1
		.amdhsa_user_sgpr_dispatch_ptr 0
		.amdhsa_user_sgpr_queue_ptr 0
		.amdhsa_user_sgpr_kernarg_segment_ptr 1
		.amdhsa_user_sgpr_dispatch_id 0
		.amdhsa_user_sgpr_flat_scratch_init 0
		.amdhsa_user_sgpr_private_segment_size 0
		.amdhsa_uses_dynamic_stack 0
		.amdhsa_system_sgpr_private_segment_wavefront_offset 0
		.amdhsa_system_sgpr_workgroup_id_x 1
		.amdhsa_system_sgpr_workgroup_id_y 0
		.amdhsa_system_sgpr_workgroup_id_z 0
		.amdhsa_system_sgpr_workgroup_info 0
		.amdhsa_system_vgpr_workitem_id 0
		.amdhsa_next_free_vgpr 20
		.amdhsa_next_free_sgpr 22
		.amdhsa_reserve_vcc 1
		.amdhsa_reserve_flat_scratch 0
		.amdhsa_float_round_mode_32 0
		.amdhsa_float_round_mode_16_64 0
		.amdhsa_float_denorm_mode_32 3
		.amdhsa_float_denorm_mode_16_64 3
		.amdhsa_dx10_clamp 1
		.amdhsa_ieee_mode 1
		.amdhsa_fp16_overflow 0
		.amdhsa_exception_fp_ieee_invalid_op 0
		.amdhsa_exception_fp_denorm_src 0
		.amdhsa_exception_fp_ieee_div_zero 0
		.amdhsa_exception_fp_ieee_overflow 0
		.amdhsa_exception_fp_ieee_underflow 0
		.amdhsa_exception_fp_ieee_inexact 0
		.amdhsa_exception_int_div_zero 0
	.end_amdhsa_kernel
	.section	.text._ZN9rocsparseL46csr2bsr_nnz_wavefront_per_row_multipass_kernelILj256ELj64ELj16EiiEEvT3_S1_S1_S1_S1_21rocsparse_index_base_PKT2_PKS1_S2_PS3_,"axG",@progbits,_ZN9rocsparseL46csr2bsr_nnz_wavefront_per_row_multipass_kernelILj256ELj64ELj16EiiEEvT3_S1_S1_S1_S1_21rocsparse_index_base_PKT2_PKS1_S2_PS3_,comdat
.Lfunc_end5:
	.size	_ZN9rocsparseL46csr2bsr_nnz_wavefront_per_row_multipass_kernelILj256ELj64ELj16EiiEEvT3_S1_S1_S1_S1_21rocsparse_index_base_PKT2_PKS1_S2_PS3_, .Lfunc_end5-_ZN9rocsparseL46csr2bsr_nnz_wavefront_per_row_multipass_kernelILj256ELj64ELj16EiiEEvT3_S1_S1_S1_S1_21rocsparse_index_base_PKT2_PKS1_S2_PS3_
                                        ; -- End function
	.set _ZN9rocsparseL46csr2bsr_nnz_wavefront_per_row_multipass_kernelILj256ELj64ELj16EiiEEvT3_S1_S1_S1_S1_21rocsparse_index_base_PKT2_PKS1_S2_PS3_.num_vgpr, 20
	.set _ZN9rocsparseL46csr2bsr_nnz_wavefront_per_row_multipass_kernelILj256ELj64ELj16EiiEEvT3_S1_S1_S1_S1_21rocsparse_index_base_PKT2_PKS1_S2_PS3_.num_agpr, 0
	.set _ZN9rocsparseL46csr2bsr_nnz_wavefront_per_row_multipass_kernelILj256ELj64ELj16EiiEEvT3_S1_S1_S1_S1_21rocsparse_index_base_PKT2_PKS1_S2_PS3_.numbered_sgpr, 22
	.set _ZN9rocsparseL46csr2bsr_nnz_wavefront_per_row_multipass_kernelILj256ELj64ELj16EiiEEvT3_S1_S1_S1_S1_21rocsparse_index_base_PKT2_PKS1_S2_PS3_.num_named_barrier, 0
	.set _ZN9rocsparseL46csr2bsr_nnz_wavefront_per_row_multipass_kernelILj256ELj64ELj16EiiEEvT3_S1_S1_S1_S1_21rocsparse_index_base_PKT2_PKS1_S2_PS3_.private_seg_size, 0
	.set _ZN9rocsparseL46csr2bsr_nnz_wavefront_per_row_multipass_kernelILj256ELj64ELj16EiiEEvT3_S1_S1_S1_S1_21rocsparse_index_base_PKT2_PKS1_S2_PS3_.uses_vcc, 1
	.set _ZN9rocsparseL46csr2bsr_nnz_wavefront_per_row_multipass_kernelILj256ELj64ELj16EiiEEvT3_S1_S1_S1_S1_21rocsparse_index_base_PKT2_PKS1_S2_PS3_.uses_flat_scratch, 0
	.set _ZN9rocsparseL46csr2bsr_nnz_wavefront_per_row_multipass_kernelILj256ELj64ELj16EiiEEvT3_S1_S1_S1_S1_21rocsparse_index_base_PKT2_PKS1_S2_PS3_.has_dyn_sized_stack, 0
	.set _ZN9rocsparseL46csr2bsr_nnz_wavefront_per_row_multipass_kernelILj256ELj64ELj16EiiEEvT3_S1_S1_S1_S1_21rocsparse_index_base_PKT2_PKS1_S2_PS3_.has_recursion, 0
	.set _ZN9rocsparseL46csr2bsr_nnz_wavefront_per_row_multipass_kernelILj256ELj64ELj16EiiEEvT3_S1_S1_S1_S1_21rocsparse_index_base_PKT2_PKS1_S2_PS3_.has_indirect_call, 0
	.section	.AMDGPU.csdata,"",@progbits
; Kernel info:
; codeLenInByte = 992
; TotalNumSgprs: 26
; NumVgprs: 20
; ScratchSize: 0
; MemoryBound: 0
; FloatMode: 240
; IeeeMode: 1
; LDSByteSize: 20 bytes/workgroup (compile time only)
; SGPRBlocks: 3
; VGPRBlocks: 4
; NumSGPRsForWavesPerEU: 26
; NumVGPRsForWavesPerEU: 20
; Occupancy: 10
; WaveLimiterHint : 0
; COMPUTE_PGM_RSRC2:SCRATCH_EN: 0
; COMPUTE_PGM_RSRC2:USER_SGPR: 6
; COMPUTE_PGM_RSRC2:TRAP_HANDLER: 0
; COMPUTE_PGM_RSRC2:TGID_X_EN: 1
; COMPUTE_PGM_RSRC2:TGID_Y_EN: 0
; COMPUTE_PGM_RSRC2:TGID_Z_EN: 0
; COMPUTE_PGM_RSRC2:TIDIG_COMP_CNT: 0
	.section	.text._ZN9rocsparseL46csr2bsr_nnz_wavefront_per_row_multipass_kernelILj256ELj32ELj16EiiEEvT3_S1_S1_S1_S1_21rocsparse_index_base_PKT2_PKS1_S2_PS3_,"axG",@progbits,_ZN9rocsparseL46csr2bsr_nnz_wavefront_per_row_multipass_kernelILj256ELj32ELj16EiiEEvT3_S1_S1_S1_S1_21rocsparse_index_base_PKT2_PKS1_S2_PS3_,comdat
	.globl	_ZN9rocsparseL46csr2bsr_nnz_wavefront_per_row_multipass_kernelILj256ELj32ELj16EiiEEvT3_S1_S1_S1_S1_21rocsparse_index_base_PKT2_PKS1_S2_PS3_ ; -- Begin function _ZN9rocsparseL46csr2bsr_nnz_wavefront_per_row_multipass_kernelILj256ELj32ELj16EiiEEvT3_S1_S1_S1_S1_21rocsparse_index_base_PKT2_PKS1_S2_PS3_
	.p2align	8
	.type	_ZN9rocsparseL46csr2bsr_nnz_wavefront_per_row_multipass_kernelILj256ELj32ELj16EiiEEvT3_S1_S1_S1_S1_21rocsparse_index_base_PKT2_PKS1_S2_PS3_,@function
_ZN9rocsparseL46csr2bsr_nnz_wavefront_per_row_multipass_kernelILj256ELj32ELj16EiiEEvT3_S1_S1_S1_S1_21rocsparse_index_base_PKT2_PKS1_S2_PS3_: ; @_ZN9rocsparseL46csr2bsr_nnz_wavefront_per_row_multipass_kernelILj256ELj32ELj16EiiEEvT3_S1_S1_S1_S1_21rocsparse_index_base_PKT2_PKS1_S2_PS3_
; %bb.0:
	s_load_dword s7, s[4:5], 0x0
	s_load_dwordx4 s[8:11], s[4:5], 0x8
	s_load_dwordx2 s[2:3], s[4:5], 0x18
	v_lshrrev_b32_e32 v5, 5, v0
	v_bfe_u32 v7, v0, 1, 4
	v_lshl_or_b32 v1, s6, 3, v5
	s_waitcnt lgkmcnt(0)
	v_mad_u64_u32 v[2:3], s[0:1], v1, s10, v[7:8]
	v_cmp_gt_i32_e64 s[0:1], s10, v7
	v_lshlrev_b32_e32 v4, 2, v5
	v_cmp_gt_i32_e32 vcc, s7, v2
	v_mov_b32_e32 v6, 0
	s_and_b64 s[0:1], s[0:1], vcc
	v_mov_b32_e32 v15, 0
	ds_write_b32 v4, v6
	s_waitcnt lgkmcnt(0)
	s_barrier
	s_and_saveexec_b64 s[6:7], s[0:1]
	s_cbranch_execz .LBB6_2
; %bb.1:
	v_ashrrev_i32_e32 v3, 31, v2
	v_lshlrev_b64 v[7:8], 2, v[2:3]
	v_mov_b32_e32 v3, s3
	v_add_co_u32_e32 v7, vcc, s2, v7
	v_addc_co_u32_e32 v8, vcc, v3, v8, vcc
	global_load_dword v3, v[7:8], off
	s_waitcnt vmcnt(0)
	v_subrev_u32_e32 v15, s11, v3
.LBB6_2:
	s_or_b64 exec, exec, s[6:7]
	s_and_saveexec_b64 s[6:7], s[0:1]
	s_cbranch_execz .LBB6_4
; %bb.3:
	v_ashrrev_i32_e32 v3, 31, v2
	v_lshlrev_b64 v[2:3], 2, v[2:3]
	v_mov_b32_e32 v6, s3
	v_add_co_u32_e32 v2, vcc, s2, v2
	v_addc_co_u32_e32 v3, vcc, v6, v3, vcc
	global_load_dword v2, v[2:3], off offset:4
	s_waitcnt vmcnt(0)
	v_subrev_u32_e32 v6, s11, v2
.LBB6_4:
	s_or_b64 exec, exec, s[6:7]
	v_and_b32_e32 v7, 31, v0
	s_cmp_lt_i32 s9, 1
	v_cmp_eq_u32_e32 vcc, 0, v7
	s_cbranch_scc1 .LBB6_18
; %bb.5:
	s_abs_i32 s18, s10
	v_cvt_f32_u32_e32 v2, s18
	s_sub_i32 s0, 0, s18
	s_load_dwordx2 s[6:7], s[4:5], 0x20
	v_mbcnt_lo_u32_b32 v3, -1, 0
	v_rcp_iflag_f32_e32 v2, v2
	v_mbcnt_hi_u32_b32 v3, -1, v3
	v_lshlrev_b32_e32 v3, 2, v3
	v_and_b32_e32 v0, 1, v0
	v_mul_f32_e32 v2, 0x4f7ffffe, v2
	v_cvt_u32_f32_e32 v2, v2
	s_ashr_i32 s10, s10, 31
	v_mov_b32_e32 v8, 0
	s_mov_b64 s[12:13], 0
	v_mul_lo_u32 v10, s0, v2
	v_mov_b32_e32 v9, 1
	v_or_b32_e32 v11, 0x7c, v3
	v_mov_b32_e32 v14, 0
	v_mul_hi_u32 v12, v2, v10
	v_or_b32_e32 v10, 4, v3
	v_add_u32_e32 v12, v2, v12
	s_branch .LBB6_7
.LBB6_6:                                ;   in Loop: Header=BB6_7 Depth=1
	s_or_b64 exec, exec, s[0:1]
	v_mov_b32_dpp v2, v13 row_shr:1 row_mask:0xf bank_mask:0xf
	v_min_i32_e32 v2, v2, v13
	s_waitcnt lgkmcnt(0)
	s_nop 0
	v_mov_b32_dpp v3, v2 row_shr:2 row_mask:0xf bank_mask:0xf
	v_min_i32_e32 v2, v3, v2
	s_nop 1
	v_mov_b32_dpp v3, v2 row_shr:4 row_mask:0xf bank_mask:0xe
	v_min_i32_e32 v2, v3, v2
	;; [unrolled: 3-line block ×3, first 2 shown]
	s_nop 1
	v_mov_b32_dpp v3, v2 row_bcast:15 row_mask:0xa bank_mask:0xf
	v_min_i32_e32 v2, v3, v2
	ds_bpermute_b32 v14, v11, v2
	s_waitcnt lgkmcnt(0)
	v_cmp_le_i32_e64 s[0:1], s9, v14
	s_or_b64 s[12:13], s[0:1], s[12:13]
	s_andn2_b64 exec, exec, s[12:13]
	s_cbranch_execz .LBB6_17
.LBB6_7:                                ; =>This Loop Header: Depth=1
                                        ;     Child Loop BB6_10 Depth 2
	v_add_u32_e32 v2, v15, v0
	v_cmp_lt_i32_e64 s[0:1], v2, v6
	v_mov_b32_e32 v13, s9
	v_mov_b32_e32 v15, v6
	ds_write_b8 v5, v8 offset:32
	s_waitcnt lgkmcnt(0)
	s_and_saveexec_b64 s[14:15], s[0:1]
	s_cbranch_execz .LBB6_15
; %bb.8:                                ;   in Loop: Header=BB6_7 Depth=1
	s_mov_b64 s[16:17], 0
	v_mov_b32_e32 v13, s9
	v_mov_b32_e32 v15, v6
	s_branch .LBB6_10
.LBB6_9:                                ;   in Loop: Header=BB6_10 Depth=2
	s_or_b64 exec, exec, s[2:3]
	v_add_u32_e32 v2, 2, v2
	v_cmp_ge_i32_e64 s[2:3], v2, v6
	s_xor_b64 s[0:1], s[0:1], -1
	s_or_b64 s[0:1], s[0:1], s[2:3]
	s_and_b64 s[0:1], exec, s[0:1]
	s_or_b64 s[16:17], s[0:1], s[16:17]
	s_andn2_b64 exec, exec, s[16:17]
	s_cbranch_execz .LBB6_14
.LBB6_10:                               ;   Parent Loop BB6_7 Depth=1
                                        ; =>  This Inner Loop Header: Depth=2
	v_ashrrev_i32_e32 v3, 31, v2
	v_lshlrev_b64 v[16:17], 2, v[2:3]
	v_mov_b32_e32 v3, s7
	v_add_co_u32_e64 v16, s[0:1], s6, v16
	v_addc_co_u32_e64 v17, s[0:1], v3, v17, s[0:1]
	global_load_dword v3, v[16:17], off
	s_waitcnt vmcnt(0)
	v_subrev_u32_e32 v3, s11, v3
	v_sub_u32_e32 v16, 0, v3
	v_max_i32_e32 v16, v3, v16
	v_mul_hi_u32 v17, v16, v12
	v_ashrrev_i32_e32 v3, 31, v3
	v_xor_b32_e32 v3, s10, v3
	v_mul_lo_u32 v18, v17, s18
	v_add_u32_e32 v19, 1, v17
	v_sub_u32_e32 v16, v16, v18
	v_cmp_le_u32_e64 s[0:1], s18, v16
	v_subrev_u32_e32 v18, s18, v16
	v_cndmask_b32_e64 v17, v17, v19, s[0:1]
	v_cndmask_b32_e64 v16, v16, v18, s[0:1]
	v_add_u32_e32 v18, 1, v17
	v_cmp_le_u32_e64 s[0:1], s18, v16
	v_cndmask_b32_e64 v16, v17, v18, s[0:1]
	v_xor_b32_e32 v16, v16, v3
	v_sub_u32_e32 v16, v16, v3
	v_cmp_eq_u32_e64 s[0:1], v16, v14
	v_cmp_ne_u32_e64 s[2:3], v16, v14
	v_mov_b32_e32 v3, v15
	s_and_saveexec_b64 s[20:21], s[2:3]
	s_xor_b64 s[2:3], exec, s[20:21]
; %bb.11:                               ;   in Loop: Header=BB6_10 Depth=2
	v_min_i32_e32 v13, v16, v13
                                        ; implicit-def: $vgpr3
; %bb.12:                               ;   in Loop: Header=BB6_10 Depth=2
	s_or_saveexec_b64 s[2:3], s[2:3]
	v_mov_b32_e32 v15, v2
	s_xor_b64 exec, exec, s[2:3]
	s_cbranch_execz .LBB6_9
; %bb.13:                               ;   in Loop: Header=BB6_10 Depth=2
	v_mov_b32_e32 v15, v3
	ds_write_b8 v5, v9 offset:32
	s_branch .LBB6_9
.LBB6_14:                               ;   in Loop: Header=BB6_7 Depth=1
	s_or_b64 exec, exec, s[16:17]
.LBB6_15:                               ;   in Loop: Header=BB6_7 Depth=1
	s_or_b64 exec, exec, s[14:15]
	s_waitcnt lgkmcnt(0)
	ds_read_u8 v2, v5 offset:32
	v_mov_b32_dpp v3, v15 row_shr:1 row_mask:0xf bank_mask:0xf
	v_min_i32_e32 v3, v3, v15
	ds_bpermute_b32 v15, v10, v3
	s_waitcnt lgkmcnt(1)
	v_and_b32_e32 v2, 1, v2
	v_cmp_eq_u32_e64 s[0:1], 1, v2
	s_and_b64 s[2:3], vcc, s[0:1]
	s_and_saveexec_b64 s[0:1], s[2:3]
	s_cbranch_execz .LBB6_6
; %bb.16:                               ;   in Loop: Header=BB6_7 Depth=1
	ds_read_b32 v2, v4
	s_waitcnt lgkmcnt(0)
	v_add_u32_e32 v2, 1, v2
	ds_write_b32 v4, v2
	s_branch .LBB6_6
.LBB6_17:
	s_or_b64 exec, exec, s[12:13]
.LBB6_18:
	v_cmp_eq_u32_e32 vcc, 0, v7
	s_and_saveexec_b64 s[0:1], vcc
	s_cbranch_execz .LBB6_21
; %bb.19:
	s_load_dword s2, s[4:5], 0x28
	s_load_dwordx2 s[0:1], s[4:5], 0x30
	v_mov_b32_e32 v2, 0
	v_cmp_gt_u32_e32 vcc, s8, v1
	s_waitcnt lgkmcnt(0)
	v_mov_b32_e32 v0, s2
	global_store_dword v2, v0, s[0:1]
	s_and_b64 exec, exec, vcc
	s_cbranch_execz .LBB6_21
; %bb.20:
	ds_read_b32 v3, v4
	v_lshlrev_b64 v[0:1], 2, v[1:2]
	v_mov_b32_e32 v2, s1
	v_add_co_u32_e32 v0, vcc, s0, v0
	v_addc_co_u32_e32 v1, vcc, v2, v1, vcc
	s_waitcnt lgkmcnt(0)
	global_store_dword v[0:1], v3, off offset:4
.LBB6_21:
	s_endpgm
	.section	.rodata,"a",@progbits
	.p2align	6, 0x0
	.amdhsa_kernel _ZN9rocsparseL46csr2bsr_nnz_wavefront_per_row_multipass_kernelILj256ELj32ELj16EiiEEvT3_S1_S1_S1_S1_21rocsparse_index_base_PKT2_PKS1_S2_PS3_
		.amdhsa_group_segment_fixed_size 40
		.amdhsa_private_segment_fixed_size 0
		.amdhsa_kernarg_size 56
		.amdhsa_user_sgpr_count 6
		.amdhsa_user_sgpr_private_segment_buffer 1
		.amdhsa_user_sgpr_dispatch_ptr 0
		.amdhsa_user_sgpr_queue_ptr 0
		.amdhsa_user_sgpr_kernarg_segment_ptr 1
		.amdhsa_user_sgpr_dispatch_id 0
		.amdhsa_user_sgpr_flat_scratch_init 0
		.amdhsa_user_sgpr_private_segment_size 0
		.amdhsa_uses_dynamic_stack 0
		.amdhsa_system_sgpr_private_segment_wavefront_offset 0
		.amdhsa_system_sgpr_workgroup_id_x 1
		.amdhsa_system_sgpr_workgroup_id_y 0
		.amdhsa_system_sgpr_workgroup_id_z 0
		.amdhsa_system_sgpr_workgroup_info 0
		.amdhsa_system_vgpr_workitem_id 0
		.amdhsa_next_free_vgpr 20
		.amdhsa_next_free_sgpr 22
		.amdhsa_reserve_vcc 1
		.amdhsa_reserve_flat_scratch 0
		.amdhsa_float_round_mode_32 0
		.amdhsa_float_round_mode_16_64 0
		.amdhsa_float_denorm_mode_32 3
		.amdhsa_float_denorm_mode_16_64 3
		.amdhsa_dx10_clamp 1
		.amdhsa_ieee_mode 1
		.amdhsa_fp16_overflow 0
		.amdhsa_exception_fp_ieee_invalid_op 0
		.amdhsa_exception_fp_denorm_src 0
		.amdhsa_exception_fp_ieee_div_zero 0
		.amdhsa_exception_fp_ieee_overflow 0
		.amdhsa_exception_fp_ieee_underflow 0
		.amdhsa_exception_fp_ieee_inexact 0
		.amdhsa_exception_int_div_zero 0
	.end_amdhsa_kernel
	.section	.text._ZN9rocsparseL46csr2bsr_nnz_wavefront_per_row_multipass_kernelILj256ELj32ELj16EiiEEvT3_S1_S1_S1_S1_21rocsparse_index_base_PKT2_PKS1_S2_PS3_,"axG",@progbits,_ZN9rocsparseL46csr2bsr_nnz_wavefront_per_row_multipass_kernelILj256ELj32ELj16EiiEEvT3_S1_S1_S1_S1_21rocsparse_index_base_PKT2_PKS1_S2_PS3_,comdat
.Lfunc_end6:
	.size	_ZN9rocsparseL46csr2bsr_nnz_wavefront_per_row_multipass_kernelILj256ELj32ELj16EiiEEvT3_S1_S1_S1_S1_21rocsparse_index_base_PKT2_PKS1_S2_PS3_, .Lfunc_end6-_ZN9rocsparseL46csr2bsr_nnz_wavefront_per_row_multipass_kernelILj256ELj32ELj16EiiEEvT3_S1_S1_S1_S1_21rocsparse_index_base_PKT2_PKS1_S2_PS3_
                                        ; -- End function
	.set _ZN9rocsparseL46csr2bsr_nnz_wavefront_per_row_multipass_kernelILj256ELj32ELj16EiiEEvT3_S1_S1_S1_S1_21rocsparse_index_base_PKT2_PKS1_S2_PS3_.num_vgpr, 20
	.set _ZN9rocsparseL46csr2bsr_nnz_wavefront_per_row_multipass_kernelILj256ELj32ELj16EiiEEvT3_S1_S1_S1_S1_21rocsparse_index_base_PKT2_PKS1_S2_PS3_.num_agpr, 0
	.set _ZN9rocsparseL46csr2bsr_nnz_wavefront_per_row_multipass_kernelILj256ELj32ELj16EiiEEvT3_S1_S1_S1_S1_21rocsparse_index_base_PKT2_PKS1_S2_PS3_.numbered_sgpr, 22
	.set _ZN9rocsparseL46csr2bsr_nnz_wavefront_per_row_multipass_kernelILj256ELj32ELj16EiiEEvT3_S1_S1_S1_S1_21rocsparse_index_base_PKT2_PKS1_S2_PS3_.num_named_barrier, 0
	.set _ZN9rocsparseL46csr2bsr_nnz_wavefront_per_row_multipass_kernelILj256ELj32ELj16EiiEEvT3_S1_S1_S1_S1_21rocsparse_index_base_PKT2_PKS1_S2_PS3_.private_seg_size, 0
	.set _ZN9rocsparseL46csr2bsr_nnz_wavefront_per_row_multipass_kernelILj256ELj32ELj16EiiEEvT3_S1_S1_S1_S1_21rocsparse_index_base_PKT2_PKS1_S2_PS3_.uses_vcc, 1
	.set _ZN9rocsparseL46csr2bsr_nnz_wavefront_per_row_multipass_kernelILj256ELj32ELj16EiiEEvT3_S1_S1_S1_S1_21rocsparse_index_base_PKT2_PKS1_S2_PS3_.uses_flat_scratch, 0
	.set _ZN9rocsparseL46csr2bsr_nnz_wavefront_per_row_multipass_kernelILj256ELj32ELj16EiiEEvT3_S1_S1_S1_S1_21rocsparse_index_base_PKT2_PKS1_S2_PS3_.has_dyn_sized_stack, 0
	.set _ZN9rocsparseL46csr2bsr_nnz_wavefront_per_row_multipass_kernelILj256ELj32ELj16EiiEEvT3_S1_S1_S1_S1_21rocsparse_index_base_PKT2_PKS1_S2_PS3_.has_recursion, 0
	.set _ZN9rocsparseL46csr2bsr_nnz_wavefront_per_row_multipass_kernelILj256ELj32ELj16EiiEEvT3_S1_S1_S1_S1_21rocsparse_index_base_PKT2_PKS1_S2_PS3_.has_indirect_call, 0
	.section	.AMDGPU.csdata,"",@progbits
; Kernel info:
; codeLenInByte = 960
; TotalNumSgprs: 26
; NumVgprs: 20
; ScratchSize: 0
; MemoryBound: 0
; FloatMode: 240
; IeeeMode: 1
; LDSByteSize: 40 bytes/workgroup (compile time only)
; SGPRBlocks: 3
; VGPRBlocks: 4
; NumSGPRsForWavesPerEU: 26
; NumVGPRsForWavesPerEU: 20
; Occupancy: 10
; WaveLimiterHint : 0
; COMPUTE_PGM_RSRC2:SCRATCH_EN: 0
; COMPUTE_PGM_RSRC2:USER_SGPR: 6
; COMPUTE_PGM_RSRC2:TRAP_HANDLER: 0
; COMPUTE_PGM_RSRC2:TGID_X_EN: 1
; COMPUTE_PGM_RSRC2:TGID_Y_EN: 0
; COMPUTE_PGM_RSRC2:TGID_Z_EN: 0
; COMPUTE_PGM_RSRC2:TIDIG_COMP_CNT: 0
	.section	.text._ZN9rocsparseL42csr2bsr_nnz_block_per_row_multipass_kernelILj256ELj32EiiEEvT2_S1_S1_S1_S1_21rocsparse_index_base_PKT1_PKS1_S2_PS3_,"axG",@progbits,_ZN9rocsparseL42csr2bsr_nnz_block_per_row_multipass_kernelILj256ELj32EiiEEvT2_S1_S1_S1_S1_21rocsparse_index_base_PKT1_PKS1_S2_PS3_,comdat
	.globl	_ZN9rocsparseL42csr2bsr_nnz_block_per_row_multipass_kernelILj256ELj32EiiEEvT2_S1_S1_S1_S1_21rocsparse_index_base_PKT1_PKS1_S2_PS3_ ; -- Begin function _ZN9rocsparseL42csr2bsr_nnz_block_per_row_multipass_kernelILj256ELj32EiiEEvT2_S1_S1_S1_S1_21rocsparse_index_base_PKT1_PKS1_S2_PS3_
	.p2align	8
	.type	_ZN9rocsparseL42csr2bsr_nnz_block_per_row_multipass_kernelILj256ELj32EiiEEvT2_S1_S1_S1_S1_21rocsparse_index_base_PKT1_PKS1_S2_PS3_,@function
_ZN9rocsparseL42csr2bsr_nnz_block_per_row_multipass_kernelILj256ELj32EiiEEvT2_S1_S1_S1_S1_21rocsparse_index_base_PKT1_PKS1_S2_PS3_: ; @_ZN9rocsparseL42csr2bsr_nnz_block_per_row_multipass_kernelILj256ELj32EiiEEvT2_S1_S1_S1_S1_21rocsparse_index_base_PKT1_PKS1_S2_PS3_
; %bb.0:
	s_load_dwordx4 s[24:27], s[4:5], 0xc
	s_load_dword s0, s[4:5], 0x0
	s_load_dwordx2 s[2:3], s[4:5], 0x18
	v_lshrrev_b32_e32 v2, 3, v0
	v_mov_b32_e32 v3, 0
	s_waitcnt lgkmcnt(0)
	s_mul_i32 s1, s25, s6
	v_add_u32_e32 v1, s1, v2
	v_cmp_gt_i32_e32 vcc, s0, v1
	v_cmp_gt_i32_e64 s[0:1], s25, v2
	s_and_b64 s[0:1], s[0:1], vcc
	v_mov_b32_e32 v10, 0
	ds_write_b32 v3, v3 offset:1024
	s_waitcnt lgkmcnt(0)
	s_barrier
	s_and_saveexec_b64 s[8:9], s[0:1]
	s_cbranch_execnz .LBB7_3
; %bb.1:
	s_or_b64 exec, exec, s[8:9]
	s_and_saveexec_b64 s[8:9], s[0:1]
	s_cbranch_execnz .LBB7_4
.LBB7_2:
	s_or_b64 exec, exec, s[8:9]
	s_cmp_lt_i32 s24, 1
	v_cmp_eq_u32_e64 s[0:1], 0, v0
	s_cbranch_scc0 .LBB7_5
	s_branch .LBB7_33
.LBB7_3:
	v_ashrrev_i32_e32 v2, 31, v1
	v_lshlrev_b64 v[4:5], 2, v[1:2]
	v_mov_b32_e32 v2, s3
	v_add_co_u32_e32 v4, vcc, s2, v4
	v_addc_co_u32_e32 v5, vcc, v2, v5, vcc
	global_load_dword v2, v[4:5], off
	s_waitcnt vmcnt(0)
	v_subrev_u32_e32 v10, s26, v2
	s_or_b64 exec, exec, s[8:9]
	s_and_saveexec_b64 s[8:9], s[0:1]
	s_cbranch_execz .LBB7_2
.LBB7_4:
	v_ashrrev_i32_e32 v2, 31, v1
	v_lshlrev_b64 v[1:2], 2, v[1:2]
	v_mov_b32_e32 v3, s3
	v_add_co_u32_e32 v1, vcc, s2, v1
	v_addc_co_u32_e32 v2, vcc, v3, v2, vcc
	global_load_dword v1, v[1:2], off offset:4
	s_waitcnt vmcnt(0)
	v_subrev_u32_e32 v3, s26, v1
	s_or_b64 exec, exec, s[8:9]
	s_cmp_lt_i32 s24, 1
	v_cmp_eq_u32_e64 s[0:1], 0, v0
	s_cbranch_scc1 .LBB7_33
.LBB7_5:
	s_abs_i32 s7, s25
	v_cvt_f32_u32_e32 v1, s7
	v_mbcnt_lo_u32_b32 v2, -1, 0
	v_mbcnt_hi_u32_b32 v2, -1, v2
	s_sub_i32 s10, 0, s7
	v_rcp_iflag_f32_e32 v1, v1
	v_lshl_or_b32 v5, v2, 2, 28
	s_load_dwordx2 s[22:23], s[4:5], 0x20
	s_movk_i32 s2, 0x80
	v_mul_f32_e32 v1, 0x4f7ffffe, v1
	v_cvt_u32_f32_e32 v1, v1
	v_and_b32_e32 v4, 7, v0
	v_lshlrev_b32_e32 v6, 2, v0
	v_cmp_gt_u32_e64 s[2:3], s2, v0
	v_mul_lo_u32 v2, s10, v1
	v_cmp_gt_u32_e64 s[8:9], 64, v0
	v_cmp_gt_u32_e64 s[10:11], 32, v0
	;; [unrolled: 1-line block ×3, first 2 shown]
	v_mul_hi_u32 v2, v1, v2
	v_cmp_gt_u32_e64 s[14:15], 8, v0
	v_cmp_gt_u32_e64 s[16:17], 4, v0
	;; [unrolled: 1-line block ×3, first 2 shown]
	s_ashr_i32 s25, s25, 31
	v_add_u32_e32 v7, v1, v2
	v_mov_b32_e32 v8, 0
	v_mov_b32_e32 v9, 1
	;; [unrolled: 1-line block ×3, first 2 shown]
	s_branch .LBB7_7
.LBB7_6:                                ;   in Loop: Header=BB7_7 Depth=1
	s_or_b64 exec, exec, s[20:21]
	s_waitcnt lgkmcnt(0)
	s_barrier
	ds_read_b32 v12, v8
	s_waitcnt lgkmcnt(0)
	s_barrier
	v_cmp_gt_i32_e32 vcc, s24, v12
	s_cbranch_vccz .LBB7_33
.LBB7_7:                                ; =>This Loop Header: Depth=1
                                        ;     Child Loop BB7_10 Depth 2
	v_add_u32_e32 v1, v10, v4
	v_cmp_lt_i32_e32 vcc, v1, v3
	v_mov_b32_e32 v11, s24
	v_mov_b32_e32 v10, v3
	ds_write_b8 v8, v8 offset:1028
	s_waitcnt lgkmcnt(0)
	s_barrier
	s_and_saveexec_b64 s[28:29], vcc
	s_cbranch_execz .LBB7_15
; %bb.8:                                ;   in Loop: Header=BB7_7 Depth=1
	s_mov_b64 s[30:31], 0
	v_mov_b32_e32 v11, s24
	v_mov_b32_e32 v10, v3
	s_branch .LBB7_10
.LBB7_9:                                ;   in Loop: Header=BB7_10 Depth=2
	s_or_b64 exec, exec, s[20:21]
	v_add_u32_e32 v1, 8, v1
	v_cmp_ge_i32_e64 s[20:21], v1, v3
	s_xor_b64 s[34:35], vcc, -1
	s_or_b64 s[20:21], s[34:35], s[20:21]
	s_and_b64 s[20:21], exec, s[20:21]
	s_or_b64 s[30:31], s[20:21], s[30:31]
	s_andn2_b64 exec, exec, s[30:31]
	s_cbranch_execz .LBB7_14
.LBB7_10:                               ;   Parent Loop BB7_7 Depth=1
                                        ; =>  This Inner Loop Header: Depth=2
	v_ashrrev_i32_e32 v2, 31, v1
	v_lshlrev_b64 v[13:14], 2, v[1:2]
	v_mov_b32_e32 v2, s23
	v_add_co_u32_e32 v13, vcc, s22, v13
	v_addc_co_u32_e32 v14, vcc, v2, v14, vcc
	global_load_dword v2, v[13:14], off
	s_waitcnt vmcnt(0)
	v_subrev_u32_e32 v2, s26, v2
	v_sub_u32_e32 v13, 0, v2
	v_max_i32_e32 v13, v2, v13
	v_mul_hi_u32 v14, v13, v7
	v_ashrrev_i32_e32 v2, 31, v2
	v_xor_b32_e32 v2, s25, v2
	v_mul_lo_u32 v15, v14, s7
	v_add_u32_e32 v16, 1, v14
	v_sub_u32_e32 v13, v13, v15
	v_cmp_le_u32_e32 vcc, s7, v13
	v_subrev_u32_e32 v15, s7, v13
	v_cndmask_b32_e32 v14, v14, v16, vcc
	v_cndmask_b32_e32 v13, v13, v15, vcc
	v_add_u32_e32 v15, 1, v14
	v_cmp_le_u32_e32 vcc, s7, v13
	v_cndmask_b32_e32 v13, v14, v15, vcc
	v_xor_b32_e32 v13, v13, v2
	v_sub_u32_e32 v13, v13, v2
	v_cmp_eq_u32_e32 vcc, v13, v12
	v_cmp_ne_u32_e64 s[20:21], v13, v12
	v_mov_b32_e32 v2, v10
	s_and_saveexec_b64 s[34:35], s[20:21]
	s_xor_b64 s[20:21], exec, s[34:35]
; %bb.11:                               ;   in Loop: Header=BB7_10 Depth=2
	v_min_i32_e32 v11, v13, v11
                                        ; implicit-def: $vgpr2
; %bb.12:                               ;   in Loop: Header=BB7_10 Depth=2
	s_or_saveexec_b64 s[20:21], s[20:21]
	v_mov_b32_e32 v10, v1
	s_xor_b64 exec, exec, s[20:21]
	s_cbranch_execz .LBB7_9
; %bb.13:                               ;   in Loop: Header=BB7_10 Depth=2
	v_mov_b32_e32 v10, v2
	ds_write_b8 v8, v9 offset:1028
	s_branch .LBB7_9
.LBB7_14:                               ;   in Loop: Header=BB7_7 Depth=1
	s_or_b64 exec, exec, s[30:31]
.LBB7_15:                               ;   in Loop: Header=BB7_7 Depth=1
	s_or_b64 exec, exec, s[28:29]
	v_mov_b32_dpp v1, v10 row_shr:1 row_mask:0xf bank_mask:0xf
	v_min_i32_e32 v1, v1, v10
	s_waitcnt lgkmcnt(0)
	s_barrier
	v_mov_b32_dpp v2, v1 row_shr:2 row_mask:0xf bank_mask:0xf
	ds_read_u8 v12, v8 offset:1028
	v_min_i32_e32 v1, v2, v1
	s_waitcnt lgkmcnt(0)
	v_readfirstlane_b32 s20, v12
	v_mov_b32_dpp v2, v1 row_shr:4 row_mask:0xf bank_mask:0xe
	v_min_i32_e32 v1, v2, v1
	ds_bpermute_b32 v10, v5, v1
	s_bitcmp1_b32 s20, 0
	s_cselect_b64 s[20:21], -1, 0
	s_and_b64 s[28:29], s[0:1], s[20:21]
	s_and_saveexec_b64 s[20:21], s[28:29]
	s_cbranch_execz .LBB7_17
; %bb.16:                               ;   in Loop: Header=BB7_7 Depth=1
	ds_read_b32 v1, v8 offset:1024
	s_waitcnt lgkmcnt(0)
	v_add_u32_e32 v1, 1, v1
	ds_write_b32 v8, v1 offset:1024
.LBB7_17:                               ;   in Loop: Header=BB7_7 Depth=1
	s_or_b64 exec, exec, s[20:21]
	ds_write_b32 v6, v11
	s_waitcnt lgkmcnt(0)
	s_barrier
	s_and_saveexec_b64 s[20:21], s[2:3]
	s_cbranch_execz .LBB7_19
; %bb.18:                               ;   in Loop: Header=BB7_7 Depth=1
	ds_read2st64_b32 v[1:2], v6 offset1:2
	s_waitcnt lgkmcnt(0)
	v_min_i32_e32 v1, v2, v1
	ds_write_b32 v6, v1
.LBB7_19:                               ;   in Loop: Header=BB7_7 Depth=1
	s_or_b64 exec, exec, s[20:21]
	s_waitcnt lgkmcnt(0)
	s_barrier
	s_and_saveexec_b64 s[20:21], s[8:9]
	s_cbranch_execz .LBB7_21
; %bb.20:                               ;   in Loop: Header=BB7_7 Depth=1
	ds_read2st64_b32 v[1:2], v6 offset1:1
	s_waitcnt lgkmcnt(0)
	v_min_i32_e32 v1, v2, v1
	ds_write_b32 v6, v1
.LBB7_21:                               ;   in Loop: Header=BB7_7 Depth=1
	s_or_b64 exec, exec, s[20:21]
	s_waitcnt lgkmcnt(0)
	s_barrier
	s_and_saveexec_b64 s[20:21], s[10:11]
	s_cbranch_execz .LBB7_23
; %bb.22:                               ;   in Loop: Header=BB7_7 Depth=1
	ds_read2_b32 v[1:2], v6 offset1:32
	s_waitcnt lgkmcnt(0)
	v_min_i32_e32 v1, v2, v1
	ds_write_b32 v6, v1
.LBB7_23:                               ;   in Loop: Header=BB7_7 Depth=1
	s_or_b64 exec, exec, s[20:21]
	s_waitcnt lgkmcnt(0)
	s_barrier
	s_and_saveexec_b64 s[20:21], s[12:13]
	s_cbranch_execz .LBB7_25
; %bb.24:                               ;   in Loop: Header=BB7_7 Depth=1
	ds_read2_b32 v[1:2], v6 offset1:16
	s_waitcnt lgkmcnt(0)
	v_min_i32_e32 v1, v2, v1
	ds_write_b32 v6, v1
.LBB7_25:                               ;   in Loop: Header=BB7_7 Depth=1
	;; [unrolled: 11-line block ×5, first 2 shown]
	s_or_b64 exec, exec, s[20:21]
	s_waitcnt lgkmcnt(0)
	s_barrier
	s_and_saveexec_b64 s[20:21], s[0:1]
	s_cbranch_execz .LBB7_6
; %bb.32:                               ;   in Loop: Header=BB7_7 Depth=1
	ds_read_b64 v[1:2], v8
	s_waitcnt lgkmcnt(0)
	v_min_i32_e32 v1, v2, v1
	ds_write_b32 v8, v1
	s_branch .LBB7_6
.LBB7_33:
	v_cmp_eq_u32_e32 vcc, 0, v0
	s_and_saveexec_b64 s[0:1], vcc
	s_cbranch_execz .LBB7_35
; %bb.34:
	s_load_dwordx2 s[0:1], s[4:5], 0x30
	s_load_dword s8, s[4:5], 0x28
	v_mov_b32_e32 v0, 0
	ds_read_b32 v1, v0 offset:1024
	s_ashr_i32 s7, s6, 31
	s_lshl_b64 s[2:3], s[6:7], 2
	s_waitcnt lgkmcnt(0)
	s_add_u32 s2, s0, s2
	v_mov_b32_e32 v2, s8
	s_addc_u32 s3, s1, s3
	global_store_dword v0, v2, s[0:1]
	global_store_dword v0, v1, s[2:3] offset:4
.LBB7_35:
	s_endpgm
	.section	.rodata,"a",@progbits
	.p2align	6, 0x0
	.amdhsa_kernel _ZN9rocsparseL42csr2bsr_nnz_block_per_row_multipass_kernelILj256ELj32EiiEEvT2_S1_S1_S1_S1_21rocsparse_index_base_PKT1_PKS1_S2_PS3_
		.amdhsa_group_segment_fixed_size 1032
		.amdhsa_private_segment_fixed_size 0
		.amdhsa_kernarg_size 56
		.amdhsa_user_sgpr_count 6
		.amdhsa_user_sgpr_private_segment_buffer 1
		.amdhsa_user_sgpr_dispatch_ptr 0
		.amdhsa_user_sgpr_queue_ptr 0
		.amdhsa_user_sgpr_kernarg_segment_ptr 1
		.amdhsa_user_sgpr_dispatch_id 0
		.amdhsa_user_sgpr_flat_scratch_init 0
		.amdhsa_user_sgpr_private_segment_size 0
		.amdhsa_uses_dynamic_stack 0
		.amdhsa_system_sgpr_private_segment_wavefront_offset 0
		.amdhsa_system_sgpr_workgroup_id_x 1
		.amdhsa_system_sgpr_workgroup_id_y 0
		.amdhsa_system_sgpr_workgroup_id_z 0
		.amdhsa_system_sgpr_workgroup_info 0
		.amdhsa_system_vgpr_workitem_id 0
		.amdhsa_next_free_vgpr 17
		.amdhsa_next_free_sgpr 36
		.amdhsa_reserve_vcc 1
		.amdhsa_reserve_flat_scratch 0
		.amdhsa_float_round_mode_32 0
		.amdhsa_float_round_mode_16_64 0
		.amdhsa_float_denorm_mode_32 3
		.amdhsa_float_denorm_mode_16_64 3
		.amdhsa_dx10_clamp 1
		.amdhsa_ieee_mode 1
		.amdhsa_fp16_overflow 0
		.amdhsa_exception_fp_ieee_invalid_op 0
		.amdhsa_exception_fp_denorm_src 0
		.amdhsa_exception_fp_ieee_div_zero 0
		.amdhsa_exception_fp_ieee_overflow 0
		.amdhsa_exception_fp_ieee_underflow 0
		.amdhsa_exception_fp_ieee_inexact 0
		.amdhsa_exception_int_div_zero 0
	.end_amdhsa_kernel
	.section	.text._ZN9rocsparseL42csr2bsr_nnz_block_per_row_multipass_kernelILj256ELj32EiiEEvT2_S1_S1_S1_S1_21rocsparse_index_base_PKT1_PKS1_S2_PS3_,"axG",@progbits,_ZN9rocsparseL42csr2bsr_nnz_block_per_row_multipass_kernelILj256ELj32EiiEEvT2_S1_S1_S1_S1_21rocsparse_index_base_PKT1_PKS1_S2_PS3_,comdat
.Lfunc_end7:
	.size	_ZN9rocsparseL42csr2bsr_nnz_block_per_row_multipass_kernelILj256ELj32EiiEEvT2_S1_S1_S1_S1_21rocsparse_index_base_PKT1_PKS1_S2_PS3_, .Lfunc_end7-_ZN9rocsparseL42csr2bsr_nnz_block_per_row_multipass_kernelILj256ELj32EiiEEvT2_S1_S1_S1_S1_21rocsparse_index_base_PKT1_PKS1_S2_PS3_
                                        ; -- End function
	.set _ZN9rocsparseL42csr2bsr_nnz_block_per_row_multipass_kernelILj256ELj32EiiEEvT2_S1_S1_S1_S1_21rocsparse_index_base_PKT1_PKS1_S2_PS3_.num_vgpr, 17
	.set _ZN9rocsparseL42csr2bsr_nnz_block_per_row_multipass_kernelILj256ELj32EiiEEvT2_S1_S1_S1_S1_21rocsparse_index_base_PKT1_PKS1_S2_PS3_.num_agpr, 0
	.set _ZN9rocsparseL42csr2bsr_nnz_block_per_row_multipass_kernelILj256ELj32EiiEEvT2_S1_S1_S1_S1_21rocsparse_index_base_PKT1_PKS1_S2_PS3_.numbered_sgpr, 36
	.set _ZN9rocsparseL42csr2bsr_nnz_block_per_row_multipass_kernelILj256ELj32EiiEEvT2_S1_S1_S1_S1_21rocsparse_index_base_PKT1_PKS1_S2_PS3_.num_named_barrier, 0
	.set _ZN9rocsparseL42csr2bsr_nnz_block_per_row_multipass_kernelILj256ELj32EiiEEvT2_S1_S1_S1_S1_21rocsparse_index_base_PKT1_PKS1_S2_PS3_.private_seg_size, 0
	.set _ZN9rocsparseL42csr2bsr_nnz_block_per_row_multipass_kernelILj256ELj32EiiEEvT2_S1_S1_S1_S1_21rocsparse_index_base_PKT1_PKS1_S2_PS3_.uses_vcc, 1
	.set _ZN9rocsparseL42csr2bsr_nnz_block_per_row_multipass_kernelILj256ELj32EiiEEvT2_S1_S1_S1_S1_21rocsparse_index_base_PKT1_PKS1_S2_PS3_.uses_flat_scratch, 0
	.set _ZN9rocsparseL42csr2bsr_nnz_block_per_row_multipass_kernelILj256ELj32EiiEEvT2_S1_S1_S1_S1_21rocsparse_index_base_PKT1_PKS1_S2_PS3_.has_dyn_sized_stack, 0
	.set _ZN9rocsparseL42csr2bsr_nnz_block_per_row_multipass_kernelILj256ELj32EiiEEvT2_S1_S1_S1_S1_21rocsparse_index_base_PKT1_PKS1_S2_PS3_.has_recursion, 0
	.set _ZN9rocsparseL42csr2bsr_nnz_block_per_row_multipass_kernelILj256ELj32EiiEEvT2_S1_S1_S1_S1_21rocsparse_index_base_PKT1_PKS1_S2_PS3_.has_indirect_call, 0
	.section	.AMDGPU.csdata,"",@progbits
; Kernel info:
; codeLenInByte = 1280
; TotalNumSgprs: 40
; NumVgprs: 17
; ScratchSize: 0
; MemoryBound: 0
; FloatMode: 240
; IeeeMode: 1
; LDSByteSize: 1032 bytes/workgroup (compile time only)
; SGPRBlocks: 4
; VGPRBlocks: 4
; NumSGPRsForWavesPerEU: 40
; NumVGPRsForWavesPerEU: 17
; Occupancy: 10
; WaveLimiterHint : 0
; COMPUTE_PGM_RSRC2:SCRATCH_EN: 0
; COMPUTE_PGM_RSRC2:USER_SGPR: 6
; COMPUTE_PGM_RSRC2:TRAP_HANDLER: 0
; COMPUTE_PGM_RSRC2:TGID_X_EN: 1
; COMPUTE_PGM_RSRC2:TGID_Y_EN: 0
; COMPUTE_PGM_RSRC2:TGID_Z_EN: 0
; COMPUTE_PGM_RSRC2:TIDIG_COMP_CNT: 0
	.section	.text._ZN9rocsparseL42csr2bsr_nnz_block_per_row_multipass_kernelILj256ELj64EiiEEvT2_S1_S1_S1_S1_21rocsparse_index_base_PKT1_PKS1_S2_PS3_,"axG",@progbits,_ZN9rocsparseL42csr2bsr_nnz_block_per_row_multipass_kernelILj256ELj64EiiEEvT2_S1_S1_S1_S1_21rocsparse_index_base_PKT1_PKS1_S2_PS3_,comdat
	.globl	_ZN9rocsparseL42csr2bsr_nnz_block_per_row_multipass_kernelILj256ELj64EiiEEvT2_S1_S1_S1_S1_21rocsparse_index_base_PKT1_PKS1_S2_PS3_ ; -- Begin function _ZN9rocsparseL42csr2bsr_nnz_block_per_row_multipass_kernelILj256ELj64EiiEEvT2_S1_S1_S1_S1_21rocsparse_index_base_PKT1_PKS1_S2_PS3_
	.p2align	8
	.type	_ZN9rocsparseL42csr2bsr_nnz_block_per_row_multipass_kernelILj256ELj64EiiEEvT2_S1_S1_S1_S1_21rocsparse_index_base_PKT1_PKS1_S2_PS3_,@function
_ZN9rocsparseL42csr2bsr_nnz_block_per_row_multipass_kernelILj256ELj64EiiEEvT2_S1_S1_S1_S1_21rocsparse_index_base_PKT1_PKS1_S2_PS3_: ; @_ZN9rocsparseL42csr2bsr_nnz_block_per_row_multipass_kernelILj256ELj64EiiEEvT2_S1_S1_S1_S1_21rocsparse_index_base_PKT1_PKS1_S2_PS3_
; %bb.0:
	s_load_dwordx4 s[24:27], s[4:5], 0xc
	s_load_dword s0, s[4:5], 0x0
	s_load_dwordx2 s[2:3], s[4:5], 0x18
	v_lshrrev_b32_e32 v2, 2, v0
	v_mov_b32_e32 v3, 0
	s_waitcnt lgkmcnt(0)
	s_mul_i32 s1, s25, s6
	v_add_u32_e32 v1, s1, v2
	v_cmp_gt_i32_e32 vcc, s0, v1
	v_cmp_gt_i32_e64 s[0:1], s25, v2
	s_and_b64 s[0:1], s[0:1], vcc
	v_mov_b32_e32 v10, 0
	ds_write_b32 v3, v3 offset:1024
	s_waitcnt lgkmcnt(0)
	s_barrier
	s_and_saveexec_b64 s[8:9], s[0:1]
	s_cbranch_execnz .LBB8_3
; %bb.1:
	s_or_b64 exec, exec, s[8:9]
	s_and_saveexec_b64 s[8:9], s[0:1]
	s_cbranch_execnz .LBB8_4
.LBB8_2:
	s_or_b64 exec, exec, s[8:9]
	s_cmp_lt_i32 s24, 1
	v_cmp_eq_u32_e64 s[0:1], 0, v0
	s_cbranch_scc0 .LBB8_5
	s_branch .LBB8_33
.LBB8_3:
	v_ashrrev_i32_e32 v2, 31, v1
	v_lshlrev_b64 v[4:5], 2, v[1:2]
	v_mov_b32_e32 v2, s3
	v_add_co_u32_e32 v4, vcc, s2, v4
	v_addc_co_u32_e32 v5, vcc, v2, v5, vcc
	global_load_dword v2, v[4:5], off
	s_waitcnt vmcnt(0)
	v_subrev_u32_e32 v10, s26, v2
	s_or_b64 exec, exec, s[8:9]
	s_and_saveexec_b64 s[8:9], s[0:1]
	s_cbranch_execz .LBB8_2
.LBB8_4:
	v_ashrrev_i32_e32 v2, 31, v1
	v_lshlrev_b64 v[1:2], 2, v[1:2]
	v_mov_b32_e32 v3, s3
	v_add_co_u32_e32 v1, vcc, s2, v1
	v_addc_co_u32_e32 v2, vcc, v3, v2, vcc
	global_load_dword v1, v[1:2], off offset:4
	s_waitcnt vmcnt(0)
	v_subrev_u32_e32 v3, s26, v1
	s_or_b64 exec, exec, s[8:9]
	s_cmp_lt_i32 s24, 1
	v_cmp_eq_u32_e64 s[0:1], 0, v0
	s_cbranch_scc1 .LBB8_33
.LBB8_5:
	s_abs_i32 s7, s25
	v_cvt_f32_u32_e32 v1, s7
	v_mbcnt_lo_u32_b32 v2, -1, 0
	v_mbcnt_hi_u32_b32 v2, -1, v2
	s_sub_i32 s10, 0, s7
	v_rcp_iflag_f32_e32 v1, v1
	v_lshl_or_b32 v5, v2, 2, 12
	s_load_dwordx2 s[22:23], s[4:5], 0x20
	s_movk_i32 s2, 0x80
	v_mul_f32_e32 v1, 0x4f7ffffe, v1
	v_cvt_u32_f32_e32 v1, v1
	v_and_b32_e32 v4, 3, v0
	v_lshlrev_b32_e32 v6, 2, v0
	v_cmp_gt_u32_e64 s[2:3], s2, v0
	v_mul_lo_u32 v2, s10, v1
	v_cmp_gt_u32_e64 s[8:9], 64, v0
	v_cmp_gt_u32_e64 s[10:11], 32, v0
	v_cmp_gt_u32_e64 s[12:13], 16, v0
	v_mul_hi_u32 v2, v1, v2
	v_cmp_gt_u32_e64 s[14:15], 8, v0
	v_cmp_gt_u32_e64 s[16:17], 4, v0
	;; [unrolled: 1-line block ×3, first 2 shown]
	s_ashr_i32 s25, s25, 31
	v_add_u32_e32 v7, v1, v2
	v_mov_b32_e32 v8, 0
	v_mov_b32_e32 v9, 1
	;; [unrolled: 1-line block ×3, first 2 shown]
	s_branch .LBB8_7
.LBB8_6:                                ;   in Loop: Header=BB8_7 Depth=1
	s_or_b64 exec, exec, s[20:21]
	s_waitcnt lgkmcnt(0)
	s_barrier
	ds_read_b32 v12, v8
	s_waitcnt lgkmcnt(0)
	s_barrier
	v_cmp_gt_i32_e32 vcc, s24, v12
	s_cbranch_vccz .LBB8_33
.LBB8_7:                                ; =>This Loop Header: Depth=1
                                        ;     Child Loop BB8_10 Depth 2
	v_add_u32_e32 v1, v10, v4
	v_cmp_lt_i32_e32 vcc, v1, v3
	v_mov_b32_e32 v11, s24
	v_mov_b32_e32 v10, v3
	ds_write_b8 v8, v8 offset:1028
	s_waitcnt lgkmcnt(0)
	s_barrier
	s_and_saveexec_b64 s[28:29], vcc
	s_cbranch_execz .LBB8_15
; %bb.8:                                ;   in Loop: Header=BB8_7 Depth=1
	s_mov_b64 s[30:31], 0
	v_mov_b32_e32 v11, s24
	v_mov_b32_e32 v10, v3
	s_branch .LBB8_10
.LBB8_9:                                ;   in Loop: Header=BB8_10 Depth=2
	s_or_b64 exec, exec, s[20:21]
	v_add_u32_e32 v1, 4, v1
	v_cmp_ge_i32_e64 s[20:21], v1, v3
	s_xor_b64 s[34:35], vcc, -1
	s_or_b64 s[20:21], s[34:35], s[20:21]
	s_and_b64 s[20:21], exec, s[20:21]
	s_or_b64 s[30:31], s[20:21], s[30:31]
	s_andn2_b64 exec, exec, s[30:31]
	s_cbranch_execz .LBB8_14
.LBB8_10:                               ;   Parent Loop BB8_7 Depth=1
                                        ; =>  This Inner Loop Header: Depth=2
	v_ashrrev_i32_e32 v2, 31, v1
	v_lshlrev_b64 v[13:14], 2, v[1:2]
	v_mov_b32_e32 v2, s23
	v_add_co_u32_e32 v13, vcc, s22, v13
	v_addc_co_u32_e32 v14, vcc, v2, v14, vcc
	global_load_dword v2, v[13:14], off
	s_waitcnt vmcnt(0)
	v_subrev_u32_e32 v2, s26, v2
	v_sub_u32_e32 v13, 0, v2
	v_max_i32_e32 v13, v2, v13
	v_mul_hi_u32 v14, v13, v7
	v_ashrrev_i32_e32 v2, 31, v2
	v_xor_b32_e32 v2, s25, v2
	v_mul_lo_u32 v15, v14, s7
	v_add_u32_e32 v16, 1, v14
	v_sub_u32_e32 v13, v13, v15
	v_cmp_le_u32_e32 vcc, s7, v13
	v_subrev_u32_e32 v15, s7, v13
	v_cndmask_b32_e32 v14, v14, v16, vcc
	v_cndmask_b32_e32 v13, v13, v15, vcc
	v_add_u32_e32 v15, 1, v14
	v_cmp_le_u32_e32 vcc, s7, v13
	v_cndmask_b32_e32 v13, v14, v15, vcc
	v_xor_b32_e32 v13, v13, v2
	v_sub_u32_e32 v13, v13, v2
	v_cmp_eq_u32_e32 vcc, v13, v12
	v_cmp_ne_u32_e64 s[20:21], v13, v12
	v_mov_b32_e32 v2, v10
	s_and_saveexec_b64 s[34:35], s[20:21]
	s_xor_b64 s[20:21], exec, s[34:35]
; %bb.11:                               ;   in Loop: Header=BB8_10 Depth=2
	v_min_i32_e32 v11, v13, v11
                                        ; implicit-def: $vgpr2
; %bb.12:                               ;   in Loop: Header=BB8_10 Depth=2
	s_or_saveexec_b64 s[20:21], s[20:21]
	v_mov_b32_e32 v10, v1
	s_xor_b64 exec, exec, s[20:21]
	s_cbranch_execz .LBB8_9
; %bb.13:                               ;   in Loop: Header=BB8_10 Depth=2
	v_mov_b32_e32 v10, v2
	ds_write_b8 v8, v9 offset:1028
	s_branch .LBB8_9
.LBB8_14:                               ;   in Loop: Header=BB8_7 Depth=1
	s_or_b64 exec, exec, s[30:31]
.LBB8_15:                               ;   in Loop: Header=BB8_7 Depth=1
	s_or_b64 exec, exec, s[28:29]
	s_waitcnt lgkmcnt(0)
	s_barrier
	v_mov_b32_dpp v1, v10 row_shr:1 row_mask:0xf bank_mask:0xf
	ds_read_u8 v2, v8 offset:1028
	v_min_i32_e32 v1, v1, v10
	s_waitcnt lgkmcnt(0)
	v_readfirstlane_b32 s20, v2
	v_mov_b32_dpp v10, v1 row_shr:2 row_mask:0xf bank_mask:0xf
	v_min_i32_e32 v1, v10, v1
	ds_bpermute_b32 v10, v5, v1
	s_bitcmp1_b32 s20, 0
	s_cselect_b64 s[20:21], -1, 0
	s_and_b64 s[28:29], s[0:1], s[20:21]
	s_and_saveexec_b64 s[20:21], s[28:29]
	s_cbranch_execz .LBB8_17
; %bb.16:                               ;   in Loop: Header=BB8_7 Depth=1
	ds_read_b32 v1, v8 offset:1024
	s_waitcnt lgkmcnt(0)
	v_add_u32_e32 v1, 1, v1
	ds_write_b32 v8, v1 offset:1024
.LBB8_17:                               ;   in Loop: Header=BB8_7 Depth=1
	s_or_b64 exec, exec, s[20:21]
	ds_write_b32 v6, v11
	s_waitcnt lgkmcnt(0)
	s_barrier
	s_and_saveexec_b64 s[20:21], s[2:3]
	s_cbranch_execz .LBB8_19
; %bb.18:                               ;   in Loop: Header=BB8_7 Depth=1
	ds_read2st64_b32 v[1:2], v6 offset1:2
	s_waitcnt lgkmcnt(0)
	v_min_i32_e32 v1, v2, v1
	ds_write_b32 v6, v1
.LBB8_19:                               ;   in Loop: Header=BB8_7 Depth=1
	s_or_b64 exec, exec, s[20:21]
	s_waitcnt lgkmcnt(0)
	s_barrier
	s_and_saveexec_b64 s[20:21], s[8:9]
	s_cbranch_execz .LBB8_21
; %bb.20:                               ;   in Loop: Header=BB8_7 Depth=1
	ds_read2st64_b32 v[1:2], v6 offset1:1
	s_waitcnt lgkmcnt(0)
	v_min_i32_e32 v1, v2, v1
	ds_write_b32 v6, v1
.LBB8_21:                               ;   in Loop: Header=BB8_7 Depth=1
	s_or_b64 exec, exec, s[20:21]
	s_waitcnt lgkmcnt(0)
	s_barrier
	s_and_saveexec_b64 s[20:21], s[10:11]
	s_cbranch_execz .LBB8_23
; %bb.22:                               ;   in Loop: Header=BB8_7 Depth=1
	ds_read2_b32 v[1:2], v6 offset1:32
	s_waitcnt lgkmcnt(0)
	v_min_i32_e32 v1, v2, v1
	ds_write_b32 v6, v1
.LBB8_23:                               ;   in Loop: Header=BB8_7 Depth=1
	s_or_b64 exec, exec, s[20:21]
	s_waitcnt lgkmcnt(0)
	s_barrier
	s_and_saveexec_b64 s[20:21], s[12:13]
	s_cbranch_execz .LBB8_25
; %bb.24:                               ;   in Loop: Header=BB8_7 Depth=1
	ds_read2_b32 v[1:2], v6 offset1:16
	s_waitcnt lgkmcnt(0)
	v_min_i32_e32 v1, v2, v1
	ds_write_b32 v6, v1
.LBB8_25:                               ;   in Loop: Header=BB8_7 Depth=1
	;; [unrolled: 11-line block ×5, first 2 shown]
	s_or_b64 exec, exec, s[20:21]
	s_waitcnt lgkmcnt(0)
	s_barrier
	s_and_saveexec_b64 s[20:21], s[0:1]
	s_cbranch_execz .LBB8_6
; %bb.32:                               ;   in Loop: Header=BB8_7 Depth=1
	ds_read_b64 v[1:2], v8
	s_waitcnt lgkmcnt(0)
	v_min_i32_e32 v1, v2, v1
	ds_write_b32 v8, v1
	s_branch .LBB8_6
.LBB8_33:
	v_cmp_eq_u32_e32 vcc, 0, v0
	s_and_saveexec_b64 s[0:1], vcc
	s_cbranch_execz .LBB8_35
; %bb.34:
	s_load_dwordx2 s[0:1], s[4:5], 0x30
	s_load_dword s8, s[4:5], 0x28
	v_mov_b32_e32 v0, 0
	ds_read_b32 v1, v0 offset:1024
	s_ashr_i32 s7, s6, 31
	s_lshl_b64 s[2:3], s[6:7], 2
	s_waitcnt lgkmcnt(0)
	s_add_u32 s2, s0, s2
	v_mov_b32_e32 v2, s8
	s_addc_u32 s3, s1, s3
	global_store_dword v0, v2, s[0:1]
	global_store_dword v0, v1, s[2:3] offset:4
.LBB8_35:
	s_endpgm
	.section	.rodata,"a",@progbits
	.p2align	6, 0x0
	.amdhsa_kernel _ZN9rocsparseL42csr2bsr_nnz_block_per_row_multipass_kernelILj256ELj64EiiEEvT2_S1_S1_S1_S1_21rocsparse_index_base_PKT1_PKS1_S2_PS3_
		.amdhsa_group_segment_fixed_size 1032
		.amdhsa_private_segment_fixed_size 0
		.amdhsa_kernarg_size 56
		.amdhsa_user_sgpr_count 6
		.amdhsa_user_sgpr_private_segment_buffer 1
		.amdhsa_user_sgpr_dispatch_ptr 0
		.amdhsa_user_sgpr_queue_ptr 0
		.amdhsa_user_sgpr_kernarg_segment_ptr 1
		.amdhsa_user_sgpr_dispatch_id 0
		.amdhsa_user_sgpr_flat_scratch_init 0
		.amdhsa_user_sgpr_private_segment_size 0
		.amdhsa_uses_dynamic_stack 0
		.amdhsa_system_sgpr_private_segment_wavefront_offset 0
		.amdhsa_system_sgpr_workgroup_id_x 1
		.amdhsa_system_sgpr_workgroup_id_y 0
		.amdhsa_system_sgpr_workgroup_id_z 0
		.amdhsa_system_sgpr_workgroup_info 0
		.amdhsa_system_vgpr_workitem_id 0
		.amdhsa_next_free_vgpr 17
		.amdhsa_next_free_sgpr 36
		.amdhsa_reserve_vcc 1
		.amdhsa_reserve_flat_scratch 0
		.amdhsa_float_round_mode_32 0
		.amdhsa_float_round_mode_16_64 0
		.amdhsa_float_denorm_mode_32 3
		.amdhsa_float_denorm_mode_16_64 3
		.amdhsa_dx10_clamp 1
		.amdhsa_ieee_mode 1
		.amdhsa_fp16_overflow 0
		.amdhsa_exception_fp_ieee_invalid_op 0
		.amdhsa_exception_fp_denorm_src 0
		.amdhsa_exception_fp_ieee_div_zero 0
		.amdhsa_exception_fp_ieee_overflow 0
		.amdhsa_exception_fp_ieee_underflow 0
		.amdhsa_exception_fp_ieee_inexact 0
		.amdhsa_exception_int_div_zero 0
	.end_amdhsa_kernel
	.section	.text._ZN9rocsparseL42csr2bsr_nnz_block_per_row_multipass_kernelILj256ELj64EiiEEvT2_S1_S1_S1_S1_21rocsparse_index_base_PKT1_PKS1_S2_PS3_,"axG",@progbits,_ZN9rocsparseL42csr2bsr_nnz_block_per_row_multipass_kernelILj256ELj64EiiEEvT2_S1_S1_S1_S1_21rocsparse_index_base_PKT1_PKS1_S2_PS3_,comdat
.Lfunc_end8:
	.size	_ZN9rocsparseL42csr2bsr_nnz_block_per_row_multipass_kernelILj256ELj64EiiEEvT2_S1_S1_S1_S1_21rocsparse_index_base_PKT1_PKS1_S2_PS3_, .Lfunc_end8-_ZN9rocsparseL42csr2bsr_nnz_block_per_row_multipass_kernelILj256ELj64EiiEEvT2_S1_S1_S1_S1_21rocsparse_index_base_PKT1_PKS1_S2_PS3_
                                        ; -- End function
	.set _ZN9rocsparseL42csr2bsr_nnz_block_per_row_multipass_kernelILj256ELj64EiiEEvT2_S1_S1_S1_S1_21rocsparse_index_base_PKT1_PKS1_S2_PS3_.num_vgpr, 17
	.set _ZN9rocsparseL42csr2bsr_nnz_block_per_row_multipass_kernelILj256ELj64EiiEEvT2_S1_S1_S1_S1_21rocsparse_index_base_PKT1_PKS1_S2_PS3_.num_agpr, 0
	.set _ZN9rocsparseL42csr2bsr_nnz_block_per_row_multipass_kernelILj256ELj64EiiEEvT2_S1_S1_S1_S1_21rocsparse_index_base_PKT1_PKS1_S2_PS3_.numbered_sgpr, 36
	.set _ZN9rocsparseL42csr2bsr_nnz_block_per_row_multipass_kernelILj256ELj64EiiEEvT2_S1_S1_S1_S1_21rocsparse_index_base_PKT1_PKS1_S2_PS3_.num_named_barrier, 0
	.set _ZN9rocsparseL42csr2bsr_nnz_block_per_row_multipass_kernelILj256ELj64EiiEEvT2_S1_S1_S1_S1_21rocsparse_index_base_PKT1_PKS1_S2_PS3_.private_seg_size, 0
	.set _ZN9rocsparseL42csr2bsr_nnz_block_per_row_multipass_kernelILj256ELj64EiiEEvT2_S1_S1_S1_S1_21rocsparse_index_base_PKT1_PKS1_S2_PS3_.uses_vcc, 1
	.set _ZN9rocsparseL42csr2bsr_nnz_block_per_row_multipass_kernelILj256ELj64EiiEEvT2_S1_S1_S1_S1_21rocsparse_index_base_PKT1_PKS1_S2_PS3_.uses_flat_scratch, 0
	.set _ZN9rocsparseL42csr2bsr_nnz_block_per_row_multipass_kernelILj256ELj64EiiEEvT2_S1_S1_S1_S1_21rocsparse_index_base_PKT1_PKS1_S2_PS3_.has_dyn_sized_stack, 0
	.set _ZN9rocsparseL42csr2bsr_nnz_block_per_row_multipass_kernelILj256ELj64EiiEEvT2_S1_S1_S1_S1_21rocsparse_index_base_PKT1_PKS1_S2_PS3_.has_recursion, 0
	.set _ZN9rocsparseL42csr2bsr_nnz_block_per_row_multipass_kernelILj256ELj64EiiEEvT2_S1_S1_S1_S1_21rocsparse_index_base_PKT1_PKS1_S2_PS3_.has_indirect_call, 0
	.section	.AMDGPU.csdata,"",@progbits
; Kernel info:
; codeLenInByte = 1268
; TotalNumSgprs: 40
; NumVgprs: 17
; ScratchSize: 0
; MemoryBound: 0
; FloatMode: 240
; IeeeMode: 1
; LDSByteSize: 1032 bytes/workgroup (compile time only)
; SGPRBlocks: 4
; VGPRBlocks: 4
; NumSGPRsForWavesPerEU: 40
; NumVGPRsForWavesPerEU: 17
; Occupancy: 10
; WaveLimiterHint : 0
; COMPUTE_PGM_RSRC2:SCRATCH_EN: 0
; COMPUTE_PGM_RSRC2:USER_SGPR: 6
; COMPUTE_PGM_RSRC2:TRAP_HANDLER: 0
; COMPUTE_PGM_RSRC2:TGID_X_EN: 1
; COMPUTE_PGM_RSRC2:TGID_Y_EN: 0
; COMPUTE_PGM_RSRC2:TGID_Z_EN: 0
; COMPUTE_PGM_RSRC2:TIDIG_COMP_CNT: 0
	.section	.text._ZN9rocsparseL25csr2bsr_nnz_65_inf_kernelILj32EiiEEvT1_S1_S1_S1_S1_S1_21rocsparse_index_base_PKT0_PKS1_S2_PS3_S8_,"axG",@progbits,_ZN9rocsparseL25csr2bsr_nnz_65_inf_kernelILj32EiiEEvT1_S1_S1_S1_S1_S1_21rocsparse_index_base_PKT0_PKS1_S2_PS3_S8_,comdat
	.globl	_ZN9rocsparseL25csr2bsr_nnz_65_inf_kernelILj32EiiEEvT1_S1_S1_S1_S1_S1_21rocsparse_index_base_PKT0_PKS1_S2_PS3_S8_ ; -- Begin function _ZN9rocsparseL25csr2bsr_nnz_65_inf_kernelILj32EiiEEvT1_S1_S1_S1_S1_S1_21rocsparse_index_base_PKT0_PKS1_S2_PS3_S8_
	.p2align	8
	.type	_ZN9rocsparseL25csr2bsr_nnz_65_inf_kernelILj32EiiEEvT1_S1_S1_S1_S1_S1_21rocsparse_index_base_PKT0_PKS1_S2_PS3_S8_,@function
_ZN9rocsparseL25csr2bsr_nnz_65_inf_kernelILj32EiiEEvT1_S1_S1_S1_S1_S1_21rocsparse_index_base_PKT0_PKS1_S2_PS3_S8_: ; @_ZN9rocsparseL25csr2bsr_nnz_65_inf_kernelILj32EiiEEvT1_S1_S1_S1_S1_S1_21rocsparse_index_base_PKT0_PKS1_S2_PS3_S8_
; %bb.0:
	s_load_dwordx4 s[8:11], s[4:5], 0x8
	s_load_dword s7, s[4:5], 0x18
	s_load_dwordx2 s[0:1], s[4:5], 0x40
	s_mov_b32 s15, 0
	s_waitcnt lgkmcnt(0)
	v_mul_lo_u32 v1, s11, v0
	s_mul_i32 s2, s6, s11
	s_lshl_b32 s14, s2, 6
	s_lshl_b64 s[2:3], s[14:15], 2
	v_ashrrev_i32_e32 v2, 31, v1
	s_add_u32 s18, s0, s2
	v_lshlrev_b64 v[3:4], 2, v[1:2]
	s_addc_u32 s19, s1, s3
	s_lshl_b32 s14, s11, 5
	v_mov_b32_e32 v2, s19
	s_cmp_gt_i32 s11, 0
	v_add_co_u32_e32 v1, vcc, s18, v3
	s_cselect_b64 s[2:3], -1, 0
	s_cmp_lt_i32 s11, 1
	v_addc_co_u32_e32 v2, vcc, v2, v4, vcc
	s_cbranch_scc1 .LBB9_5
; %bb.1:
	s_load_dwordx2 s[12:13], s[4:5], 0x20
	s_load_dword s20, s[4:5], 0x0
	s_lshl_b64 s[16:17], s[14:15], 2
	v_mov_b32_e32 v6, v2
	s_mul_i32 s21, s10, s6
	v_mov_b32_e32 v11, 0
	v_mov_b32_e32 v12, s17
	;; [unrolled: 1-line block ×4, first 2 shown]
	s_mov_b32 s17, s11
	s_branch .LBB9_3
.LBB9_2:                                ;   in Loop: Header=BB9_3 Depth=1
	s_or_b64 exec, exec, s[0:1]
	s_add_i32 s17, s17, -1
	v_add_co_u32_e32 v5, vcc, 4, v5
	v_addc_co_u32_e32 v6, vcc, 0, v6, vcc
	s_cmp_eq_u32 s17, 0
	v_add_u32_e32 v13, 32, v13
	s_cbranch_scc1 .LBB9_5
.LBB9_3:                                ; =>This Inner Loop Header: Depth=1
	v_add_co_u32_e32 v7, vcc, s16, v5
	v_addc_co_u32_e32 v8, vcc, v6, v12, vcc
	v_add_u32_e32 v9, s21, v13
	s_waitcnt lgkmcnt(0)
	v_cmp_gt_i32_e32 vcc, s20, v9
	v_cmp_gt_u32_e64 s[0:1], s10, v13
	s_and_b64 s[22:23], s[0:1], vcc
	global_store_dword v[5:6], v11, off
	global_store_dword v[7:8], v11, off
	s_and_saveexec_b64 s[0:1], s[22:23]
	s_cbranch_execz .LBB9_2
; %bb.4:                                ;   in Loop: Header=BB9_3 Depth=1
	v_ashrrev_i32_e32 v10, 31, v9
	v_lshlrev_b64 v[9:10], 2, v[9:10]
	v_mov_b32_e32 v14, s13
	v_add_co_u32_e32 v9, vcc, s12, v9
	v_addc_co_u32_e32 v10, vcc, v14, v10, vcc
	global_load_dwordx2 v[9:10], v[9:10], off
	s_waitcnt vmcnt(0)
	v_subrev_u32_e32 v9, s7, v9
	v_subrev_u32_e32 v10, s7, v10
	global_store_dword v[5:6], v9, off
	global_store_dword v[7:8], v10, off
	s_branch .LBB9_2
.LBB9_5:
	s_load_dwordx2 s[12:13], s[4:5], 0x38
	s_cmp_lt_i32 s9, 1
	v_cmp_eq_u32_e64 s[0:1], 31, v0
	s_cbranch_scc1 .LBB9_20
; %bb.6:
	s_lshl_b64 s[14:15], s[14:15], 2
	s_add_u32 s16, s18, s14
	s_addc_u32 s18, s19, s15
	s_abs_i32 s33, s10
	v_cvt_f32_u32_e32 v5, s33
	s_sub_i32 s19, 0, s33
	v_mbcnt_lo_u32_b32 v6, -1, 0
	v_mov_b32_e32 v7, 0x7c
	v_rcp_iflag_f32_e32 v5, v5
	v_mbcnt_hi_u32_b32 v6, -1, v6
	s_load_dwordx2 s[14:15], s[4:5], 0x28
	v_lshl_or_b32 v10, v6, 2, v7
	v_mul_f32_e32 v5, 0x4f7ffffe, v5
	v_cvt_u32_f32_e32 v5, v5
	v_mov_b32_e32 v6, s18
	v_add_co_u32_e32 v11, vcc, s16, v3
	v_mul_lo_u32 v8, s19, v5
	v_cndmask_b32_e64 v3, 0, 1, s[2:3]
	s_mov_b32 s17, 0
	v_mov_b32_e32 v14, 0
	v_mul_hi_u32 v7, v5, v8
	s_ashr_i32 s10, s10, 31
	v_addc_co_u32_e32 v12, vcc, v6, v4, vcc
	v_add_u32_e32 v13, v5, v7
	s_mov_b64 s[18:19], 0
	v_cmp_ne_u32_e64 s[2:3], 1, v3
	v_mov_b32_e32 v9, 0
	s_branch .LBB9_8
.LBB9_7:                                ;   in Loop: Header=BB9_8 Depth=1
	s_nop 0
	v_mov_b32_dpp v3, v15 row_shr:1 row_mask:0xf bank_mask:0xf
	v_min_i32_e32 v3, v3, v15
	s_nop 1
	v_mov_b32_dpp v4, v3 row_shr:2 row_mask:0xf bank_mask:0xf
	v_min_i32_e32 v3, v4, v3
	;; [unrolled: 3-line block ×4, first 2 shown]
	s_nop 1
	v_mov_b32_dpp v4, v3 row_bcast:15 row_mask:0xa bank_mask:0xf
	v_min_i32_e32 v3, v4, v3
	ds_bpermute_b32 v3, v10, v3
	s_waitcnt lgkmcnt(0)
	v_cmp_gt_i32_e32 vcc, s9, v3
	v_add_u32_e32 v14, 1, v3
	s_and_b64 s[20:21], s[0:1], vcc
	v_cndmask_b32_e64 v3, 0, 1, s[20:21]
	v_cmp_le_i32_e32 vcc, s9, v14
	s_or_b64 s[18:19], vcc, s[18:19]
	v_add_u32_e32 v9, v9, v3
	s_andn2_b64 exec, exec, s[18:19]
	s_cbranch_execz .LBB9_19
.LBB9_8:                                ; =>This Loop Header: Depth=1
                                        ;     Child Loop BB9_12 Depth 2
                                        ;       Child Loop BB9_15 Depth 3
	s_and_b64 vcc, exec, s[2:3]
	v_mov_b32_e32 v15, s9
	s_cbranch_vccnz .LBB9_7
; %bb.9:                                ;   in Loop: Header=BB9_8 Depth=1
	s_mov_b32 s16, 0
	v_mov_b32_e32 v15, s9
	s_branch .LBB9_12
.LBB9_10:                               ;   in Loop: Header=BB9_12 Depth=2
	s_or_b64 exec, exec, s[22:23]
.LBB9_11:                               ;   in Loop: Header=BB9_12 Depth=2
	s_or_b64 exec, exec, s[20:21]
	s_add_i32 s16, s16, 1
	s_cmp_eq_u32 s16, s11
	s_cbranch_scc1 .LBB9_7
.LBB9_12:                               ;   Parent Loop BB9_8 Depth=1
                                        ; =>  This Loop Header: Depth=2
                                        ;       Child Loop BB9_15 Depth 3
	s_lshl_b64 s[20:21], s[16:17], 2
	v_mov_b32_e32 v6, s21
	v_add_co_u32_e32 v3, vcc, s20, v1
	v_addc_co_u32_e32 v4, vcc, v2, v6, vcc
	v_add_co_u32_e32 v5, vcc, s20, v11
	v_addc_co_u32_e32 v6, vcc, v12, v6, vcc
	global_load_dword v7, v[3:4], off
	global_load_dword v16, v[5:6], off
	s_waitcnt vmcnt(0)
	v_cmp_lt_i32_e32 vcc, v7, v16
	s_and_saveexec_b64 s[20:21], vcc
	s_cbranch_execz .LBB9_11
; %bb.13:                               ;   in Loop: Header=BB9_12 Depth=2
	v_ashrrev_i32_e32 v8, 31, v7
	v_lshlrev_b64 v[5:6], 2, v[7:8]
	s_waitcnt lgkmcnt(0)
	v_mov_b32_e32 v8, s15
	v_add_co_u32_e32 v5, vcc, s14, v5
	v_addc_co_u32_e32 v6, vcc, v8, v6, vcc
	s_mov_b64 s[22:23], 0
                                        ; implicit-def: $sgpr24_sgpr25
                                        ; implicit-def: $sgpr28_sgpr29
                                        ; implicit-def: $sgpr26_sgpr27
	s_branch .LBB9_15
.LBB9_14:                               ;   in Loop: Header=BB9_15 Depth=3
	s_or_b64 exec, exec, s[30:31]
	s_and_b64 s[30:31], exec, s[28:29]
	s_or_b64 s[22:23], s[30:31], s[22:23]
	s_andn2_b64 s[24:25], s[24:25], exec
	s_and_b64 s[30:31], s[26:27], exec
	s_or_b64 s[24:25], s[24:25], s[30:31]
	s_andn2_b64 exec, exec, s[22:23]
	s_cbranch_execz .LBB9_17
.LBB9_15:                               ;   Parent Loop BB9_8 Depth=1
                                        ;     Parent Loop BB9_12 Depth=2
                                        ; =>    This Inner Loop Header: Depth=3
	global_load_dword v8, v[5:6], off
	s_or_b64 s[26:27], s[26:27], exec
	s_or_b64 s[28:29], s[28:29], exec
	s_waitcnt vmcnt(0)
	v_subrev_u32_e32 v17, s7, v8
	v_sub_u32_e32 v8, 0, v17
	v_max_i32_e32 v18, v17, v8
	v_mul_hi_u32 v19, v18, v13
	v_mov_b32_e32 v8, v7
	v_ashrrev_i32_e32 v17, 31, v17
	v_xor_b32_e32 v17, s10, v17
	v_mul_lo_u32 v7, v19, s33
	v_add_u32_e32 v20, 1, v19
	v_sub_u32_e32 v7, v18, v7
	v_cmp_le_u32_e32 vcc, s33, v7
	v_cndmask_b32_e32 v18, v19, v20, vcc
	v_subrev_u32_e32 v19, s33, v7
	v_cndmask_b32_e32 v7, v7, v19, vcc
	v_add_u32_e32 v19, 1, v18
	v_cmp_le_u32_e32 vcc, s33, v7
	v_cndmask_b32_e32 v7, v18, v19, vcc
	v_xor_b32_e32 v7, v7, v17
	v_sub_u32_e32 v17, v7, v17
	v_cmp_lt_i32_e32 vcc, v17, v14
                                        ; implicit-def: $vgpr7
	s_and_saveexec_b64 s[30:31], vcc
	s_cbranch_execz .LBB9_14
; %bb.16:                               ;   in Loop: Header=BB9_15 Depth=3
	v_add_co_u32_e32 v5, vcc, 4, v5
	v_add_u32_e32 v7, 1, v8
	v_addc_co_u32_e32 v6, vcc, 0, v6, vcc
	v_cmp_ge_i32_e32 vcc, v7, v16
	s_andn2_b64 s[28:29], s[28:29], exec
	s_and_b64 s[34:35], vcc, exec
	s_andn2_b64 s[26:27], s[26:27], exec
	s_or_b64 s[28:29], s[28:29], s[34:35]
	s_branch .LBB9_14
.LBB9_17:                               ;   in Loop: Header=BB9_12 Depth=2
	s_or_b64 exec, exec, s[22:23]
	s_and_saveexec_b64 s[22:23], s[24:25]
	s_xor_b64 s[22:23], exec, s[22:23]
	s_cbranch_execz .LBB9_10
; %bb.18:                               ;   in Loop: Header=BB9_12 Depth=2
	v_min_i32_e32 v15, v17, v15
	global_store_dword v[3:4], v8, off
	s_branch .LBB9_10
.LBB9_19:
	s_or_b64 exec, exec, s[18:19]
	s_branch .LBB9_21
.LBB9_20:
	v_mov_b32_e32 v9, 0
.LBB9_21:
	s_cmp_lt_i32 s6, s8
	s_cselect_b64 s[0:1], -1, 0
	v_cmp_eq_u32_e32 vcc, 31, v0
	s_and_b64 s[0:1], vcc, s[0:1]
	s_and_saveexec_b64 s[2:3], s[0:1]
	s_cbranch_execz .LBB9_23
; %bb.22:
	s_load_dword s2, s[4:5], 0x30
	s_ashr_i32 s7, s6, 31
	s_lshl_b64 s[0:1], s[6:7], 2
	s_waitcnt lgkmcnt(0)
	s_add_u32 s0, s12, s0
	v_mov_b32_e32 v0, 0
	v_mov_b32_e32 v1, s2
	s_addc_u32 s1, s13, s1
	global_store_dword v0, v1, s[12:13]
	global_store_dword v0, v9, s[0:1] offset:4
.LBB9_23:
	s_endpgm
	.section	.rodata,"a",@progbits
	.p2align	6, 0x0
	.amdhsa_kernel _ZN9rocsparseL25csr2bsr_nnz_65_inf_kernelILj32EiiEEvT1_S1_S1_S1_S1_S1_21rocsparse_index_base_PKT0_PKS1_S2_PS3_S8_
		.amdhsa_group_segment_fixed_size 0
		.amdhsa_private_segment_fixed_size 0
		.amdhsa_kernarg_size 72
		.amdhsa_user_sgpr_count 6
		.amdhsa_user_sgpr_private_segment_buffer 1
		.amdhsa_user_sgpr_dispatch_ptr 0
		.amdhsa_user_sgpr_queue_ptr 0
		.amdhsa_user_sgpr_kernarg_segment_ptr 1
		.amdhsa_user_sgpr_dispatch_id 0
		.amdhsa_user_sgpr_flat_scratch_init 0
		.amdhsa_user_sgpr_private_segment_size 0
		.amdhsa_uses_dynamic_stack 0
		.amdhsa_system_sgpr_private_segment_wavefront_offset 0
		.amdhsa_system_sgpr_workgroup_id_x 1
		.amdhsa_system_sgpr_workgroup_id_y 0
		.amdhsa_system_sgpr_workgroup_id_z 0
		.amdhsa_system_sgpr_workgroup_info 0
		.amdhsa_system_vgpr_workitem_id 0
		.amdhsa_next_free_vgpr 21
		.amdhsa_next_free_sgpr 36
		.amdhsa_reserve_vcc 1
		.amdhsa_reserve_flat_scratch 0
		.amdhsa_float_round_mode_32 0
		.amdhsa_float_round_mode_16_64 0
		.amdhsa_float_denorm_mode_32 3
		.amdhsa_float_denorm_mode_16_64 3
		.amdhsa_dx10_clamp 1
		.amdhsa_ieee_mode 1
		.amdhsa_fp16_overflow 0
		.amdhsa_exception_fp_ieee_invalid_op 0
		.amdhsa_exception_fp_denorm_src 0
		.amdhsa_exception_fp_ieee_div_zero 0
		.amdhsa_exception_fp_ieee_overflow 0
		.amdhsa_exception_fp_ieee_underflow 0
		.amdhsa_exception_fp_ieee_inexact 0
		.amdhsa_exception_int_div_zero 0
	.end_amdhsa_kernel
	.section	.text._ZN9rocsparseL25csr2bsr_nnz_65_inf_kernelILj32EiiEEvT1_S1_S1_S1_S1_S1_21rocsparse_index_base_PKT0_PKS1_S2_PS3_S8_,"axG",@progbits,_ZN9rocsparseL25csr2bsr_nnz_65_inf_kernelILj32EiiEEvT1_S1_S1_S1_S1_S1_21rocsparse_index_base_PKT0_PKS1_S2_PS3_S8_,comdat
.Lfunc_end9:
	.size	_ZN9rocsparseL25csr2bsr_nnz_65_inf_kernelILj32EiiEEvT1_S1_S1_S1_S1_S1_21rocsparse_index_base_PKT0_PKS1_S2_PS3_S8_, .Lfunc_end9-_ZN9rocsparseL25csr2bsr_nnz_65_inf_kernelILj32EiiEEvT1_S1_S1_S1_S1_S1_21rocsparse_index_base_PKT0_PKS1_S2_PS3_S8_
                                        ; -- End function
	.set _ZN9rocsparseL25csr2bsr_nnz_65_inf_kernelILj32EiiEEvT1_S1_S1_S1_S1_S1_21rocsparse_index_base_PKT0_PKS1_S2_PS3_S8_.num_vgpr, 21
	.set _ZN9rocsparseL25csr2bsr_nnz_65_inf_kernelILj32EiiEEvT1_S1_S1_S1_S1_S1_21rocsparse_index_base_PKT0_PKS1_S2_PS3_S8_.num_agpr, 0
	.set _ZN9rocsparseL25csr2bsr_nnz_65_inf_kernelILj32EiiEEvT1_S1_S1_S1_S1_S1_21rocsparse_index_base_PKT0_PKS1_S2_PS3_S8_.numbered_sgpr, 36
	.set _ZN9rocsparseL25csr2bsr_nnz_65_inf_kernelILj32EiiEEvT1_S1_S1_S1_S1_S1_21rocsparse_index_base_PKT0_PKS1_S2_PS3_S8_.num_named_barrier, 0
	.set _ZN9rocsparseL25csr2bsr_nnz_65_inf_kernelILj32EiiEEvT1_S1_S1_S1_S1_S1_21rocsparse_index_base_PKT0_PKS1_S2_PS3_S8_.private_seg_size, 0
	.set _ZN9rocsparseL25csr2bsr_nnz_65_inf_kernelILj32EiiEEvT1_S1_S1_S1_S1_S1_21rocsparse_index_base_PKT0_PKS1_S2_PS3_S8_.uses_vcc, 1
	.set _ZN9rocsparseL25csr2bsr_nnz_65_inf_kernelILj32EiiEEvT1_S1_S1_S1_S1_S1_21rocsparse_index_base_PKT0_PKS1_S2_PS3_S8_.uses_flat_scratch, 0
	.set _ZN9rocsparseL25csr2bsr_nnz_65_inf_kernelILj32EiiEEvT1_S1_S1_S1_S1_S1_21rocsparse_index_base_PKT0_PKS1_S2_PS3_S8_.has_dyn_sized_stack, 0
	.set _ZN9rocsparseL25csr2bsr_nnz_65_inf_kernelILj32EiiEEvT1_S1_S1_S1_S1_S1_21rocsparse_index_base_PKT0_PKS1_S2_PS3_S8_.has_recursion, 0
	.set _ZN9rocsparseL25csr2bsr_nnz_65_inf_kernelILj32EiiEEvT1_S1_S1_S1_S1_S1_21rocsparse_index_base_PKT0_PKS1_S2_PS3_S8_.has_indirect_call, 0
	.section	.AMDGPU.csdata,"",@progbits
; Kernel info:
; codeLenInByte = 1056
; TotalNumSgprs: 40
; NumVgprs: 21
; ScratchSize: 0
; MemoryBound: 0
; FloatMode: 240
; IeeeMode: 1
; LDSByteSize: 0 bytes/workgroup (compile time only)
; SGPRBlocks: 4
; VGPRBlocks: 5
; NumSGPRsForWavesPerEU: 40
; NumVGPRsForWavesPerEU: 21
; Occupancy: 10
; WaveLimiterHint : 0
; COMPUTE_PGM_RSRC2:SCRATCH_EN: 0
; COMPUTE_PGM_RSRC2:USER_SGPR: 6
; COMPUTE_PGM_RSRC2:TRAP_HANDLER: 0
; COMPUTE_PGM_RSRC2:TGID_X_EN: 1
; COMPUTE_PGM_RSRC2:TGID_Y_EN: 0
; COMPUTE_PGM_RSRC2:TGID_Z_EN: 0
; COMPUTE_PGM_RSRC2:TIDIG_COMP_CNT: 0
	.section	.text._ZN9rocsparseL36csr2bsr_nnz_compute_nnz_total_kernelILj1EiiEEvT1_PKT0_PS2_,"axG",@progbits,_ZN9rocsparseL36csr2bsr_nnz_compute_nnz_total_kernelILj1EiiEEvT1_PKT0_PS2_,comdat
	.globl	_ZN9rocsparseL36csr2bsr_nnz_compute_nnz_total_kernelILj1EiiEEvT1_PKT0_PS2_ ; -- Begin function _ZN9rocsparseL36csr2bsr_nnz_compute_nnz_total_kernelILj1EiiEEvT1_PKT0_PS2_
	.p2align	8
	.type	_ZN9rocsparseL36csr2bsr_nnz_compute_nnz_total_kernelILj1EiiEEvT1_PKT0_PS2_,@function
_ZN9rocsparseL36csr2bsr_nnz_compute_nnz_total_kernelILj1EiiEEvT1_PKT0_PS2_: ; @_ZN9rocsparseL36csr2bsr_nnz_compute_nnz_total_kernelILj1EiiEEvT1_PKT0_PS2_
; %bb.0:
	s_sub_i32 s0, 0, s6
	s_cmp_lg_u32 s0, 0
	s_cbranch_scc1 .LBB10_2
; %bb.1:
	s_load_dword s6, s[4:5], 0x0
	s_load_dwordx4 s[0:3], s[4:5], 0x8
	v_mov_b32_e32 v0, 0
	s_waitcnt lgkmcnt(0)
	s_ashr_i32 s7, s6, 31
	s_lshl_b64 s[4:5], s[6:7], 2
	s_add_u32 s4, s0, s4
	s_addc_u32 s5, s1, s5
	s_load_dword s6, s[4:5], 0x0
	s_load_dword s7, s[0:1], 0x0
	s_waitcnt lgkmcnt(0)
	s_sub_i32 s0, s6, s7
	v_mov_b32_e32 v1, s0
	global_store_dword v0, v1, s[2:3]
.LBB10_2:
	s_endpgm
	.section	.rodata,"a",@progbits
	.p2align	6, 0x0
	.amdhsa_kernel _ZN9rocsparseL36csr2bsr_nnz_compute_nnz_total_kernelILj1EiiEEvT1_PKT0_PS2_
		.amdhsa_group_segment_fixed_size 0
		.amdhsa_private_segment_fixed_size 0
		.amdhsa_kernarg_size 24
		.amdhsa_user_sgpr_count 6
		.amdhsa_user_sgpr_private_segment_buffer 1
		.amdhsa_user_sgpr_dispatch_ptr 0
		.amdhsa_user_sgpr_queue_ptr 0
		.amdhsa_user_sgpr_kernarg_segment_ptr 1
		.amdhsa_user_sgpr_dispatch_id 0
		.amdhsa_user_sgpr_flat_scratch_init 0
		.amdhsa_user_sgpr_private_segment_size 0
		.amdhsa_uses_dynamic_stack 0
		.amdhsa_system_sgpr_private_segment_wavefront_offset 0
		.amdhsa_system_sgpr_workgroup_id_x 1
		.amdhsa_system_sgpr_workgroup_id_y 0
		.amdhsa_system_sgpr_workgroup_id_z 0
		.amdhsa_system_sgpr_workgroup_info 0
		.amdhsa_system_vgpr_workitem_id 0
		.amdhsa_next_free_vgpr 2
		.amdhsa_next_free_sgpr 8
		.amdhsa_reserve_vcc 0
		.amdhsa_reserve_flat_scratch 0
		.amdhsa_float_round_mode_32 0
		.amdhsa_float_round_mode_16_64 0
		.amdhsa_float_denorm_mode_32 3
		.amdhsa_float_denorm_mode_16_64 3
		.amdhsa_dx10_clamp 1
		.amdhsa_ieee_mode 1
		.amdhsa_fp16_overflow 0
		.amdhsa_exception_fp_ieee_invalid_op 0
		.amdhsa_exception_fp_denorm_src 0
		.amdhsa_exception_fp_ieee_div_zero 0
		.amdhsa_exception_fp_ieee_overflow 0
		.amdhsa_exception_fp_ieee_underflow 0
		.amdhsa_exception_fp_ieee_inexact 0
		.amdhsa_exception_int_div_zero 0
	.end_amdhsa_kernel
	.section	.text._ZN9rocsparseL36csr2bsr_nnz_compute_nnz_total_kernelILj1EiiEEvT1_PKT0_PS2_,"axG",@progbits,_ZN9rocsparseL36csr2bsr_nnz_compute_nnz_total_kernelILj1EiiEEvT1_PKT0_PS2_,comdat
.Lfunc_end10:
	.size	_ZN9rocsparseL36csr2bsr_nnz_compute_nnz_total_kernelILj1EiiEEvT1_PKT0_PS2_, .Lfunc_end10-_ZN9rocsparseL36csr2bsr_nnz_compute_nnz_total_kernelILj1EiiEEvT1_PKT0_PS2_
                                        ; -- End function
	.set _ZN9rocsparseL36csr2bsr_nnz_compute_nnz_total_kernelILj1EiiEEvT1_PKT0_PS2_.num_vgpr, 2
	.set _ZN9rocsparseL36csr2bsr_nnz_compute_nnz_total_kernelILj1EiiEEvT1_PKT0_PS2_.num_agpr, 0
	.set _ZN9rocsparseL36csr2bsr_nnz_compute_nnz_total_kernelILj1EiiEEvT1_PKT0_PS2_.numbered_sgpr, 8
	.set _ZN9rocsparseL36csr2bsr_nnz_compute_nnz_total_kernelILj1EiiEEvT1_PKT0_PS2_.num_named_barrier, 0
	.set _ZN9rocsparseL36csr2bsr_nnz_compute_nnz_total_kernelILj1EiiEEvT1_PKT0_PS2_.private_seg_size, 0
	.set _ZN9rocsparseL36csr2bsr_nnz_compute_nnz_total_kernelILj1EiiEEvT1_PKT0_PS2_.uses_vcc, 0
	.set _ZN9rocsparseL36csr2bsr_nnz_compute_nnz_total_kernelILj1EiiEEvT1_PKT0_PS2_.uses_flat_scratch, 0
	.set _ZN9rocsparseL36csr2bsr_nnz_compute_nnz_total_kernelILj1EiiEEvT1_PKT0_PS2_.has_dyn_sized_stack, 0
	.set _ZN9rocsparseL36csr2bsr_nnz_compute_nnz_total_kernelILj1EiiEEvT1_PKT0_PS2_.has_recursion, 0
	.set _ZN9rocsparseL36csr2bsr_nnz_compute_nnz_total_kernelILj1EiiEEvT1_PKT0_PS2_.has_indirect_call, 0
	.section	.AMDGPU.csdata,"",@progbits
; Kernel info:
; codeLenInByte = 92
; TotalNumSgprs: 12
; NumVgprs: 2
; ScratchSize: 0
; MemoryBound: 0
; FloatMode: 240
; IeeeMode: 1
; LDSByteSize: 0 bytes/workgroup (compile time only)
; SGPRBlocks: 1
; VGPRBlocks: 0
; NumSGPRsForWavesPerEU: 12
; NumVGPRsForWavesPerEU: 2
; Occupancy: 10
; WaveLimiterHint : 0
; COMPUTE_PGM_RSRC2:SCRATCH_EN: 0
; COMPUTE_PGM_RSRC2:USER_SGPR: 6
; COMPUTE_PGM_RSRC2:TRAP_HANDLER: 0
; COMPUTE_PGM_RSRC2:TGID_X_EN: 1
; COMPUTE_PGM_RSRC2:TGID_Y_EN: 0
; COMPUTE_PGM_RSRC2:TGID_Z_EN: 0
; COMPUTE_PGM_RSRC2:TIDIG_COMP_CNT: 0
	.section	.text._ZN9rocsparseL39csr2bsr_nnz_block_dim_equals_one_kernelILj256EliEEvT1_21rocsparse_index_base_PKT0_S2_PS3_S6_,"axG",@progbits,_ZN9rocsparseL39csr2bsr_nnz_block_dim_equals_one_kernelILj256EliEEvT1_21rocsparse_index_base_PKT0_S2_PS3_S6_,comdat
	.globl	_ZN9rocsparseL39csr2bsr_nnz_block_dim_equals_one_kernelILj256EliEEvT1_21rocsparse_index_base_PKT0_S2_PS3_S6_ ; -- Begin function _ZN9rocsparseL39csr2bsr_nnz_block_dim_equals_one_kernelILj256EliEEvT1_21rocsparse_index_base_PKT0_S2_PS3_S6_
	.p2align	8
	.type	_ZN9rocsparseL39csr2bsr_nnz_block_dim_equals_one_kernelILj256EliEEvT1_21rocsparse_index_base_PKT0_S2_PS3_S6_,@function
_ZN9rocsparseL39csr2bsr_nnz_block_dim_equals_one_kernelILj256EliEEvT1_21rocsparse_index_base_PKT0_S2_PS3_S6_: ; @_ZN9rocsparseL39csr2bsr_nnz_block_dim_equals_one_kernelILj256EliEEvT1_21rocsparse_index_base_PKT0_S2_PS3_S6_
; %bb.0:
	s_load_dword s7, s[4:5], 0x34
	s_load_dwordx4 s[0:3], s[4:5], 0x0
	s_waitcnt lgkmcnt(0)
	s_and_b32 s7, s7, 0xffff
	s_mul_i32 s6, s6, s7
	v_add_u32_e32 v0, s6, v0
	v_cmp_ge_i32_e32 vcc, s0, v0
	s_and_saveexec_b64 s[6:7], vcc
	s_cbranch_execnz .LBB11_3
; %bb.1:
	s_or_b64 exec, exec, s[6:7]
	v_cmp_eq_u32_e32 vcc, 0, v0
	s_and_saveexec_b64 s[6:7], vcc
	s_cbranch_execnz .LBB11_4
.LBB11_2:
	s_endpgm
.LBB11_3:
	v_ashrrev_i32_e32 v1, 31, v0
	v_lshlrev_b64 v[1:2], 3, v[0:1]
	v_mov_b32_e32 v4, s3
	v_add_co_u32_e32 v3, vcc, s2, v1
	v_addc_co_u32_e32 v4, vcc, v4, v2, vcc
	global_load_dwordx2 v[3:4], v[3:4], off
	s_load_dwordx2 s[8:9], s[4:5], 0x18
	s_load_dword s10, s[4:5], 0x10
	s_waitcnt lgkmcnt(0)
	v_mov_b32_e32 v5, s9
	s_sub_u32 s1, s10, s1
	v_add_co_u32_e32 v1, vcc, s8, v1
	v_addc_co_u32_e32 v2, vcc, v5, v2, vcc
	s_subb_u32 s8, 0, 0
	v_mov_b32_e32 v5, s8
	s_waitcnt vmcnt(0)
	v_add_co_u32_e32 v3, vcc, s1, v3
	v_addc_co_u32_e32 v4, vcc, v5, v4, vcc
	global_store_dwordx2 v[1:2], v[3:4], off
	s_or_b64 exec, exec, s[6:7]
	v_cmp_eq_u32_e32 vcc, 0, v0
	s_and_saveexec_b64 s[6:7], vcc
	s_cbranch_execz .LBB11_2
.LBB11_4:
	s_ashr_i32 s1, s0, 31
	s_lshl_b64 s[0:1], s[0:1], 3
	s_add_u32 s0, s2, s0
	s_addc_u32 s1, s3, s1
	s_load_dwordx2 s[6:7], s[0:1], 0x0
	s_load_dwordx2 s[8:9], s[2:3], 0x0
	;; [unrolled: 1-line block ×3, first 2 shown]
	v_mov_b32_e32 v2, 0
	s_waitcnt lgkmcnt(0)
	s_sub_u32 s0, s6, s8
	s_subb_u32 s1, s7, s9
	v_mov_b32_e32 v0, s0
	v_mov_b32_e32 v1, s1
	global_store_dwordx2 v2, v[0:1], s[10:11]
	s_endpgm
	.section	.rodata,"a",@progbits
	.p2align	6, 0x0
	.amdhsa_kernel _ZN9rocsparseL39csr2bsr_nnz_block_dim_equals_one_kernelILj256EliEEvT1_21rocsparse_index_base_PKT0_S2_PS3_S6_
		.amdhsa_group_segment_fixed_size 0
		.amdhsa_private_segment_fixed_size 0
		.amdhsa_kernarg_size 296
		.amdhsa_user_sgpr_count 6
		.amdhsa_user_sgpr_private_segment_buffer 1
		.amdhsa_user_sgpr_dispatch_ptr 0
		.amdhsa_user_sgpr_queue_ptr 0
		.amdhsa_user_sgpr_kernarg_segment_ptr 1
		.amdhsa_user_sgpr_dispatch_id 0
		.amdhsa_user_sgpr_flat_scratch_init 0
		.amdhsa_user_sgpr_private_segment_size 0
		.amdhsa_uses_dynamic_stack 0
		.amdhsa_system_sgpr_private_segment_wavefront_offset 0
		.amdhsa_system_sgpr_workgroup_id_x 1
		.amdhsa_system_sgpr_workgroup_id_y 0
		.amdhsa_system_sgpr_workgroup_id_z 0
		.amdhsa_system_sgpr_workgroup_info 0
		.amdhsa_system_vgpr_workitem_id 0
		.amdhsa_next_free_vgpr 6
		.amdhsa_next_free_sgpr 12
		.amdhsa_reserve_vcc 1
		.amdhsa_reserve_flat_scratch 0
		.amdhsa_float_round_mode_32 0
		.amdhsa_float_round_mode_16_64 0
		.amdhsa_float_denorm_mode_32 3
		.amdhsa_float_denorm_mode_16_64 3
		.amdhsa_dx10_clamp 1
		.amdhsa_ieee_mode 1
		.amdhsa_fp16_overflow 0
		.amdhsa_exception_fp_ieee_invalid_op 0
		.amdhsa_exception_fp_denorm_src 0
		.amdhsa_exception_fp_ieee_div_zero 0
		.amdhsa_exception_fp_ieee_overflow 0
		.amdhsa_exception_fp_ieee_underflow 0
		.amdhsa_exception_fp_ieee_inexact 0
		.amdhsa_exception_int_div_zero 0
	.end_amdhsa_kernel
	.section	.text._ZN9rocsparseL39csr2bsr_nnz_block_dim_equals_one_kernelILj256EliEEvT1_21rocsparse_index_base_PKT0_S2_PS3_S6_,"axG",@progbits,_ZN9rocsparseL39csr2bsr_nnz_block_dim_equals_one_kernelILj256EliEEvT1_21rocsparse_index_base_PKT0_S2_PS3_S6_,comdat
.Lfunc_end11:
	.size	_ZN9rocsparseL39csr2bsr_nnz_block_dim_equals_one_kernelILj256EliEEvT1_21rocsparse_index_base_PKT0_S2_PS3_S6_, .Lfunc_end11-_ZN9rocsparseL39csr2bsr_nnz_block_dim_equals_one_kernelILj256EliEEvT1_21rocsparse_index_base_PKT0_S2_PS3_S6_
                                        ; -- End function
	.set _ZN9rocsparseL39csr2bsr_nnz_block_dim_equals_one_kernelILj256EliEEvT1_21rocsparse_index_base_PKT0_S2_PS3_S6_.num_vgpr, 6
	.set _ZN9rocsparseL39csr2bsr_nnz_block_dim_equals_one_kernelILj256EliEEvT1_21rocsparse_index_base_PKT0_S2_PS3_S6_.num_agpr, 0
	.set _ZN9rocsparseL39csr2bsr_nnz_block_dim_equals_one_kernelILj256EliEEvT1_21rocsparse_index_base_PKT0_S2_PS3_S6_.numbered_sgpr, 12
	.set _ZN9rocsparseL39csr2bsr_nnz_block_dim_equals_one_kernelILj256EliEEvT1_21rocsparse_index_base_PKT0_S2_PS3_S6_.num_named_barrier, 0
	.set _ZN9rocsparseL39csr2bsr_nnz_block_dim_equals_one_kernelILj256EliEEvT1_21rocsparse_index_base_PKT0_S2_PS3_S6_.private_seg_size, 0
	.set _ZN9rocsparseL39csr2bsr_nnz_block_dim_equals_one_kernelILj256EliEEvT1_21rocsparse_index_base_PKT0_S2_PS3_S6_.uses_vcc, 1
	.set _ZN9rocsparseL39csr2bsr_nnz_block_dim_equals_one_kernelILj256EliEEvT1_21rocsparse_index_base_PKT0_S2_PS3_S6_.uses_flat_scratch, 0
	.set _ZN9rocsparseL39csr2bsr_nnz_block_dim_equals_one_kernelILj256EliEEvT1_21rocsparse_index_base_PKT0_S2_PS3_S6_.has_dyn_sized_stack, 0
	.set _ZN9rocsparseL39csr2bsr_nnz_block_dim_equals_one_kernelILj256EliEEvT1_21rocsparse_index_base_PKT0_S2_PS3_S6_.has_recursion, 0
	.set _ZN9rocsparseL39csr2bsr_nnz_block_dim_equals_one_kernelILj256EliEEvT1_21rocsparse_index_base_PKT0_S2_PS3_S6_.has_indirect_call, 0
	.section	.AMDGPU.csdata,"",@progbits
; Kernel info:
; codeLenInByte = 256
; TotalNumSgprs: 16
; NumVgprs: 6
; ScratchSize: 0
; MemoryBound: 1
; FloatMode: 240
; IeeeMode: 1
; LDSByteSize: 0 bytes/workgroup (compile time only)
; SGPRBlocks: 1
; VGPRBlocks: 1
; NumSGPRsForWavesPerEU: 16
; NumVGPRsForWavesPerEU: 6
; Occupancy: 10
; WaveLimiterHint : 0
; COMPUTE_PGM_RSRC2:SCRATCH_EN: 0
; COMPUTE_PGM_RSRC2:USER_SGPR: 6
; COMPUTE_PGM_RSRC2:TRAP_HANDLER: 0
; COMPUTE_PGM_RSRC2:TGID_X_EN: 1
; COMPUTE_PGM_RSRC2:TGID_Y_EN: 0
; COMPUTE_PGM_RSRC2:TGID_Z_EN: 0
; COMPUTE_PGM_RSRC2:TIDIG_COMP_CNT: 0
	.section	.text._ZN9rocsparseL39csr2bsr_nnz_block_dim_equals_one_kernelILj256EliEEvT1_21rocsparse_index_base_PKT0_S2_PS3_,"axG",@progbits,_ZN9rocsparseL39csr2bsr_nnz_block_dim_equals_one_kernelILj256EliEEvT1_21rocsparse_index_base_PKT0_S2_PS3_,comdat
	.globl	_ZN9rocsparseL39csr2bsr_nnz_block_dim_equals_one_kernelILj256EliEEvT1_21rocsparse_index_base_PKT0_S2_PS3_ ; -- Begin function _ZN9rocsparseL39csr2bsr_nnz_block_dim_equals_one_kernelILj256EliEEvT1_21rocsparse_index_base_PKT0_S2_PS3_
	.p2align	8
	.type	_ZN9rocsparseL39csr2bsr_nnz_block_dim_equals_one_kernelILj256EliEEvT1_21rocsparse_index_base_PKT0_S2_PS3_,@function
_ZN9rocsparseL39csr2bsr_nnz_block_dim_equals_one_kernelILj256EliEEvT1_21rocsparse_index_base_PKT0_S2_PS3_: ; @_ZN9rocsparseL39csr2bsr_nnz_block_dim_equals_one_kernelILj256EliEEvT1_21rocsparse_index_base_PKT0_S2_PS3_
; %bb.0:
	s_load_dwordx2 s[0:1], s[4:5], 0x0
	v_lshl_or_b32 v0, s6, 8, v0
	s_waitcnt lgkmcnt(0)
	v_cmp_ge_i32_e32 vcc, s0, v0
	s_and_saveexec_b64 s[2:3], vcc
	s_cbranch_execz .LBB12_2
; %bb.1:
	s_load_dwordx2 s[2:3], s[4:5], 0x8
	s_load_dword s0, s[4:5], 0x10
	v_ashrrev_i32_e32 v1, 31, v0
	v_lshlrev_b64 v[0:1], 3, v[0:1]
	s_waitcnt lgkmcnt(0)
	v_mov_b32_e32 v3, s3
	v_add_co_u32_e32 v2, vcc, s2, v0
	v_addc_co_u32_e32 v3, vcc, v3, v1, vcc
	global_load_dwordx2 v[2:3], v[2:3], off
	s_load_dwordx2 s[2:3], s[4:5], 0x18
	s_sub_u32 s0, s0, s1
	s_subb_u32 s1, 0, 0
	s_waitcnt lgkmcnt(0)
	v_mov_b32_e32 v4, s3
	v_add_co_u32_e32 v0, vcc, s2, v0
	v_addc_co_u32_e32 v1, vcc, v4, v1, vcc
	v_mov_b32_e32 v4, s1
	s_waitcnt vmcnt(0)
	v_add_co_u32_e32 v2, vcc, s0, v2
	v_addc_co_u32_e32 v3, vcc, v4, v3, vcc
	global_store_dwordx2 v[0:1], v[2:3], off
.LBB12_2:
	s_endpgm
	.section	.rodata,"a",@progbits
	.p2align	6, 0x0
	.amdhsa_kernel _ZN9rocsparseL39csr2bsr_nnz_block_dim_equals_one_kernelILj256EliEEvT1_21rocsparse_index_base_PKT0_S2_PS3_
		.amdhsa_group_segment_fixed_size 0
		.amdhsa_private_segment_fixed_size 0
		.amdhsa_kernarg_size 32
		.amdhsa_user_sgpr_count 6
		.amdhsa_user_sgpr_private_segment_buffer 1
		.amdhsa_user_sgpr_dispatch_ptr 0
		.amdhsa_user_sgpr_queue_ptr 0
		.amdhsa_user_sgpr_kernarg_segment_ptr 1
		.amdhsa_user_sgpr_dispatch_id 0
		.amdhsa_user_sgpr_flat_scratch_init 0
		.amdhsa_user_sgpr_private_segment_size 0
		.amdhsa_uses_dynamic_stack 0
		.amdhsa_system_sgpr_private_segment_wavefront_offset 0
		.amdhsa_system_sgpr_workgroup_id_x 1
		.amdhsa_system_sgpr_workgroup_id_y 0
		.amdhsa_system_sgpr_workgroup_id_z 0
		.amdhsa_system_sgpr_workgroup_info 0
		.amdhsa_system_vgpr_workitem_id 0
		.amdhsa_next_free_vgpr 5
		.amdhsa_next_free_sgpr 7
		.amdhsa_reserve_vcc 1
		.amdhsa_reserve_flat_scratch 0
		.amdhsa_float_round_mode_32 0
		.amdhsa_float_round_mode_16_64 0
		.amdhsa_float_denorm_mode_32 3
		.amdhsa_float_denorm_mode_16_64 3
		.amdhsa_dx10_clamp 1
		.amdhsa_ieee_mode 1
		.amdhsa_fp16_overflow 0
		.amdhsa_exception_fp_ieee_invalid_op 0
		.amdhsa_exception_fp_denorm_src 0
		.amdhsa_exception_fp_ieee_div_zero 0
		.amdhsa_exception_fp_ieee_overflow 0
		.amdhsa_exception_fp_ieee_underflow 0
		.amdhsa_exception_fp_ieee_inexact 0
		.amdhsa_exception_int_div_zero 0
	.end_amdhsa_kernel
	.section	.text._ZN9rocsparseL39csr2bsr_nnz_block_dim_equals_one_kernelILj256EliEEvT1_21rocsparse_index_base_PKT0_S2_PS3_,"axG",@progbits,_ZN9rocsparseL39csr2bsr_nnz_block_dim_equals_one_kernelILj256EliEEvT1_21rocsparse_index_base_PKT0_S2_PS3_,comdat
.Lfunc_end12:
	.size	_ZN9rocsparseL39csr2bsr_nnz_block_dim_equals_one_kernelILj256EliEEvT1_21rocsparse_index_base_PKT0_S2_PS3_, .Lfunc_end12-_ZN9rocsparseL39csr2bsr_nnz_block_dim_equals_one_kernelILj256EliEEvT1_21rocsparse_index_base_PKT0_S2_PS3_
                                        ; -- End function
	.set _ZN9rocsparseL39csr2bsr_nnz_block_dim_equals_one_kernelILj256EliEEvT1_21rocsparse_index_base_PKT0_S2_PS3_.num_vgpr, 5
	.set _ZN9rocsparseL39csr2bsr_nnz_block_dim_equals_one_kernelILj256EliEEvT1_21rocsparse_index_base_PKT0_S2_PS3_.num_agpr, 0
	.set _ZN9rocsparseL39csr2bsr_nnz_block_dim_equals_one_kernelILj256EliEEvT1_21rocsparse_index_base_PKT0_S2_PS3_.numbered_sgpr, 7
	.set _ZN9rocsparseL39csr2bsr_nnz_block_dim_equals_one_kernelILj256EliEEvT1_21rocsparse_index_base_PKT0_S2_PS3_.num_named_barrier, 0
	.set _ZN9rocsparseL39csr2bsr_nnz_block_dim_equals_one_kernelILj256EliEEvT1_21rocsparse_index_base_PKT0_S2_PS3_.private_seg_size, 0
	.set _ZN9rocsparseL39csr2bsr_nnz_block_dim_equals_one_kernelILj256EliEEvT1_21rocsparse_index_base_PKT0_S2_PS3_.uses_vcc, 1
	.set _ZN9rocsparseL39csr2bsr_nnz_block_dim_equals_one_kernelILj256EliEEvT1_21rocsparse_index_base_PKT0_S2_PS3_.uses_flat_scratch, 0
	.set _ZN9rocsparseL39csr2bsr_nnz_block_dim_equals_one_kernelILj256EliEEvT1_21rocsparse_index_base_PKT0_S2_PS3_.has_dyn_sized_stack, 0
	.set _ZN9rocsparseL39csr2bsr_nnz_block_dim_equals_one_kernelILj256EliEEvT1_21rocsparse_index_base_PKT0_S2_PS3_.has_recursion, 0
	.set _ZN9rocsparseL39csr2bsr_nnz_block_dim_equals_one_kernelILj256EliEEvT1_21rocsparse_index_base_PKT0_S2_PS3_.has_indirect_call, 0
	.section	.AMDGPU.csdata,"",@progbits
; Kernel info:
; codeLenInByte = 144
; TotalNumSgprs: 11
; NumVgprs: 5
; ScratchSize: 0
; MemoryBound: 0
; FloatMode: 240
; IeeeMode: 1
; LDSByteSize: 0 bytes/workgroup (compile time only)
; SGPRBlocks: 1
; VGPRBlocks: 1
; NumSGPRsForWavesPerEU: 11
; NumVGPRsForWavesPerEU: 5
; Occupancy: 10
; WaveLimiterHint : 0
; COMPUTE_PGM_RSRC2:SCRATCH_EN: 0
; COMPUTE_PGM_RSRC2:USER_SGPR: 6
; COMPUTE_PGM_RSRC2:TRAP_HANDLER: 0
; COMPUTE_PGM_RSRC2:TGID_X_EN: 1
; COMPUTE_PGM_RSRC2:TGID_Y_EN: 0
; COMPUTE_PGM_RSRC2:TGID_Z_EN: 0
; COMPUTE_PGM_RSRC2:TIDIG_COMP_CNT: 0
	.section	.text._ZN9rocsparseL46csr2bsr_nnz_wavefront_per_row_multipass_kernelILj256ELj16ELj4EliEEvT3_S1_S1_S1_S1_21rocsparse_index_base_PKT2_PKS1_S2_PS3_,"axG",@progbits,_ZN9rocsparseL46csr2bsr_nnz_wavefront_per_row_multipass_kernelILj256ELj16ELj4EliEEvT3_S1_S1_S1_S1_21rocsparse_index_base_PKT2_PKS1_S2_PS3_,comdat
	.globl	_ZN9rocsparseL46csr2bsr_nnz_wavefront_per_row_multipass_kernelILj256ELj16ELj4EliEEvT3_S1_S1_S1_S1_21rocsparse_index_base_PKT2_PKS1_S2_PS3_ ; -- Begin function _ZN9rocsparseL46csr2bsr_nnz_wavefront_per_row_multipass_kernelILj256ELj16ELj4EliEEvT3_S1_S1_S1_S1_21rocsparse_index_base_PKT2_PKS1_S2_PS3_
	.p2align	8
	.type	_ZN9rocsparseL46csr2bsr_nnz_wavefront_per_row_multipass_kernelILj256ELj16ELj4EliEEvT3_S1_S1_S1_S1_21rocsparse_index_base_PKT2_PKS1_S2_PS3_,@function
_ZN9rocsparseL46csr2bsr_nnz_wavefront_per_row_multipass_kernelILj256ELj16ELj4EliEEvT3_S1_S1_S1_S1_21rocsparse_index_base_PKT2_PKS1_S2_PS3_: ; @_ZN9rocsparseL46csr2bsr_nnz_wavefront_per_row_multipass_kernelILj256ELj16ELj4EliEEvT3_S1_S1_S1_S1_21rocsparse_index_base_PKT2_PKS1_S2_PS3_
; %bb.0:
	s_load_dword s7, s[4:5], 0x0
	s_load_dwordx4 s[8:11], s[4:5], 0x8
	s_load_dwordx2 s[2:3], s[4:5], 0x18
	v_lshrrev_b32_e32 v17, 4, v0
	v_bfe_u32 v2, v0, 2, 2
	v_lshl_or_b32 v1, s6, 4, v17
	s_waitcnt lgkmcnt(0)
	v_mad_u64_u32 v[4:5], s[0:1], v1, s10, v[2:3]
	v_lshlrev_b32_e32 v16, 2, v17
	v_mov_b32_e32 v3, 0
	ds_write_b32 v16, v3
	v_cmp_gt_i32_e32 vcc, s7, v4
	v_cmp_gt_i32_e64 s[0:1], s10, v2
	v_mov_b32_e32 v2, 0
	v_mov_b32_e32 v6, 0
	;; [unrolled: 1-line block ×4, first 2 shown]
	s_and_b64 s[0:1], s[0:1], vcc
	s_waitcnt lgkmcnt(0)
	s_barrier
	s_and_saveexec_b64 s[6:7], s[0:1]
	s_cbranch_execz .LBB13_2
; %bb.1:
	v_ashrrev_i32_e32 v5, 31, v4
	v_lshlrev_b64 v[5:6], 3, v[4:5]
	v_mov_b32_e32 v7, s3
	v_add_co_u32_e32 v5, vcc, s2, v5
	v_addc_co_u32_e32 v6, vcc, v7, v6, vcc
	global_load_dwordx2 v[6:7], v[5:6], off
	s_waitcnt vmcnt(0)
	v_subrev_co_u32_e32 v6, vcc, s11, v6
	v_subbrev_co_u32_e32 v7, vcc, 0, v7, vcc
.LBB13_2:
	s_or_b64 exec, exec, s[6:7]
	s_and_saveexec_b64 s[6:7], s[0:1]
	s_cbranch_execz .LBB13_4
; %bb.3:
	v_ashrrev_i32_e32 v5, 31, v4
	v_lshlrev_b64 v[2:3], 3, v[4:5]
	v_mov_b32_e32 v4, s3
	v_add_co_u32_e32 v2, vcc, s2, v2
	v_addc_co_u32_e32 v3, vcc, v4, v3, vcc
	global_load_dwordx2 v[2:3], v[2:3], off offset:8
	s_waitcnt vmcnt(0)
	v_subrev_co_u32_e32 v2, vcc, s11, v2
	v_subbrev_co_u32_e32 v3, vcc, 0, v3, vcc
.LBB13_4:
	s_or_b64 exec, exec, s[6:7]
	v_and_b32_e32 v18, 15, v0
	s_cmp_lt_i32 s9, 1
	v_cmp_eq_u32_e32 vcc, 0, v18
	s_cbranch_scc1 .LBB13_18
; %bb.5:
	s_abs_i32 s18, s10
	v_cvt_f32_u32_e32 v4, s18
	s_sub_i32 s0, 0, s18
	s_load_dwordx2 s[6:7], s[4:5], 0x20
	v_mbcnt_lo_u32_b32 v9, -1, 0
	v_rcp_iflag_f32_e32 v4, v4
	v_mbcnt_hi_u32_b32 v9, -1, v9
	v_lshlrev_b32_e32 v9, 2, v9
	v_and_b32_e32 v0, 3, v0
	v_mul_f32_e32 v4, 0x4f7ffffe, v4
	v_cvt_u32_f32_e32 v8, v4
	v_mov_b32_e32 v4, 0
	v_mov_b32_e32 v19, 0
	s_ashr_i32 s10, s10, 31
	v_mul_lo_u32 v10, s0, v8
	s_mov_b64 s[12:13], 0
	v_mov_b32_e32 v5, 0
	v_or_b32_e32 v20, 12, v9
	v_mul_hi_u32 v10, v8, v10
	v_or_b32_e32 v21, 60, v9
	v_mov_b32_e32 v23, 1
	v_add_u32_e32 v22, v8, v10
	s_branch .LBB13_7
.LBB13_6:                               ;   in Loop: Header=BB13_7 Depth=1
	s_or_b64 exec, exec, s[0:1]
	v_mov_b32_dpp v4, v24 row_shr:1 row_mask:0xf bank_mask:0xf
	v_min_i32_e32 v4, v4, v24
	s_waitcnt lgkmcnt(0)
	s_nop 0
	v_mov_b32_dpp v5, v4 row_shr:2 row_mask:0xf bank_mask:0xf
	v_min_i32_e32 v4, v5, v4
	s_nop 1
	v_mov_b32_dpp v5, v4 row_shr:4 row_mask:0xf bank_mask:0xe
	v_min_i32_e32 v4, v5, v4
	;; [unrolled: 3-line block ×3, first 2 shown]
	ds_bpermute_b32 v4, v21, v4
	s_waitcnt lgkmcnt(0)
	v_cmp_le_i32_e64 s[0:1], s9, v4
	v_ashrrev_i32_e32 v5, 31, v4
	s_or_b64 s[12:13], s[0:1], s[12:13]
	s_andn2_b64 exec, exec, s[12:13]
	s_cbranch_execz .LBB13_17
.LBB13_7:                               ; =>This Loop Header: Depth=1
                                        ;     Child Loop BB13_10 Depth 2
	v_add_co_u32_e64 v6, s[0:1], v6, v0
	v_addc_co_u32_e64 v7, s[0:1], 0, v7, s[0:1]
	v_cmp_lt_i64_e64 s[0:1], v[6:7], v[2:3]
	v_mov_b32_e32 v11, v3
	v_mov_b32_e32 v24, s9
	;; [unrolled: 1-line block ×3, first 2 shown]
	ds_write_b8 v17, v19 offset:64
	s_waitcnt lgkmcnt(0)
	s_and_saveexec_b64 s[14:15], s[0:1]
	s_cbranch_execz .LBB13_15
; %bb.8:                                ;   in Loop: Header=BB13_7 Depth=1
	v_lshlrev_b64 v[8:9], 2, v[6:7]
	v_mov_b32_e32 v10, s7
	v_add_co_u32_e64 v8, s[0:1], s6, v8
	v_addc_co_u32_e64 v9, s[0:1], v10, v9, s[0:1]
	v_mov_b32_e32 v11, v3
	s_mov_b64 s[16:17], 0
	v_mov_b32_e32 v24, s9
	v_mov_b32_e32 v10, v2
	s_branch .LBB13_10
.LBB13_9:                               ;   in Loop: Header=BB13_10 Depth=2
	s_or_b64 exec, exec, s[2:3]
	v_add_co_u32_e64 v6, s[2:3], 4, v6
	v_addc_co_u32_e64 v7, s[2:3], 0, v7, s[2:3]
	v_cmp_ge_i64_e64 s[2:3], v[6:7], v[2:3]
	s_xor_b64 s[0:1], s[0:1], -1
	s_or_b64 s[0:1], s[0:1], s[2:3]
	s_and_b64 s[0:1], exec, s[0:1]
	s_or_b64 s[16:17], s[0:1], s[16:17]
	v_add_co_u32_e64 v8, s[0:1], 16, v8
	v_addc_co_u32_e64 v9, s[0:1], 0, v9, s[0:1]
	s_andn2_b64 exec, exec, s[16:17]
	s_cbranch_execz .LBB13_14
.LBB13_10:                              ;   Parent Loop BB13_7 Depth=1
                                        ; =>  This Inner Loop Header: Depth=2
	global_load_dword v12, v[8:9], off
	s_waitcnt vmcnt(0)
	v_subrev_u32_e32 v12, s11, v12
	v_sub_u32_e32 v13, 0, v12
	v_max_i32_e32 v13, v12, v13
	v_mul_hi_u32 v14, v13, v22
	v_ashrrev_i32_e32 v12, 31, v12
	v_xor_b32_e32 v12, s10, v12
	v_mul_lo_u32 v15, v14, s18
	v_add_u32_e32 v25, 1, v14
	v_sub_u32_e32 v13, v13, v15
	v_cmp_le_u32_e64 s[0:1], s18, v13
	v_subrev_u32_e32 v15, s18, v13
	v_cndmask_b32_e64 v14, v14, v25, s[0:1]
	v_cndmask_b32_e64 v13, v13, v15, s[0:1]
	v_add_u32_e32 v15, 1, v14
	v_cmp_le_u32_e64 s[0:1], s18, v13
	v_cndmask_b32_e64 v13, v14, v15, s[0:1]
	v_xor_b32_e32 v13, v13, v12
	v_sub_u32_e32 v14, v13, v12
	v_ashrrev_i32_e32 v15, 31, v14
	v_cmp_eq_u64_e64 s[0:1], v[4:5], v[14:15]
	v_cmp_ne_u64_e64 s[2:3], v[4:5], v[14:15]
	v_mov_b32_e32 v13, v11
	v_mov_b32_e32 v12, v10
	s_and_saveexec_b64 s[20:21], s[2:3]
	s_xor_b64 s[2:3], exec, s[20:21]
; %bb.11:                               ;   in Loop: Header=BB13_10 Depth=2
	v_min_i32_e32 v24, v14, v24
                                        ; implicit-def: $vgpr12_vgpr13
; %bb.12:                               ;   in Loop: Header=BB13_10 Depth=2
	s_or_saveexec_b64 s[2:3], s[2:3]
	v_mov_b32_e32 v11, v7
	v_mov_b32_e32 v10, v6
	s_xor_b64 exec, exec, s[2:3]
	s_cbranch_execz .LBB13_9
; %bb.13:                               ;   in Loop: Header=BB13_10 Depth=2
	v_mov_b32_e32 v10, v12
	v_mov_b32_e32 v11, v13
	ds_write_b8 v17, v23 offset:64
	s_branch .LBB13_9
.LBB13_14:                              ;   in Loop: Header=BB13_7 Depth=1
	s_or_b64 exec, exec, s[16:17]
.LBB13_15:                              ;   in Loop: Header=BB13_7 Depth=1
	s_or_b64 exec, exec, s[14:15]
	v_mov_b32_dpp v4, v10 row_shr:1 row_mask:0xf bank_mask:0xf
	v_mov_b32_dpp v5, v11 row_shr:1 row_mask:0xf bank_mask:0xf
	v_cmp_lt_i64_e64 s[0:1], v[4:5], v[10:11]
	s_waitcnt lgkmcnt(0)
	v_cndmask_b32_e64 v5, v11, v5, s[0:1]
	v_cndmask_b32_e64 v4, v10, v4, s[0:1]
	ds_read_u8 v8, v17 offset:64
	v_mov_b32_dpp v7, v5 row_shr:2 row_mask:0xf bank_mask:0xf
	v_mov_b32_dpp v6, v4 row_shr:2 row_mask:0xf bank_mask:0xf
	v_cmp_lt_i64_e64 s[0:1], v[6:7], v[4:5]
	v_cndmask_b32_e64 v5, v5, v7, s[0:1]
	v_cndmask_b32_e64 v4, v4, v6, s[0:1]
	ds_bpermute_b32 v6, v20, v4
	ds_bpermute_b32 v7, v20, v5
	s_waitcnt lgkmcnt(2)
	v_and_b32_e32 v4, 1, v8
	v_cmp_eq_u32_e64 s[0:1], 1, v4
	s_and_b64 s[2:3], vcc, s[0:1]
	s_and_saveexec_b64 s[0:1], s[2:3]
	s_cbranch_execz .LBB13_6
; %bb.16:                               ;   in Loop: Header=BB13_7 Depth=1
	ds_read_b32 v4, v16
	s_waitcnt lgkmcnt(0)
	v_add_u32_e32 v4, 1, v4
	ds_write_b32 v16, v4
	s_branch .LBB13_6
.LBB13_17:
	s_or_b64 exec, exec, s[12:13]
.LBB13_18:
	v_cmp_eq_u32_e32 vcc, 0, v18
	s_and_saveexec_b64 s[0:1], vcc
	s_cbranch_execz .LBB13_21
; %bb.19:
	s_load_dword s2, s[4:5], 0x28
	s_load_dwordx2 s[0:1], s[4:5], 0x30
	v_mov_b32_e32 v3, 0
	v_cmp_gt_u32_e32 vcc, s8, v1
	s_waitcnt lgkmcnt(0)
	v_mov_b32_e32 v2, s2
	global_store_dwordx2 v3, v[2:3], s[0:1]
	s_and_b64 exec, exec, vcc
	s_cbranch_execz .LBB13_21
; %bb.20:
	v_mov_b32_e32 v2, v3
	v_lshlrev_b64 v[0:1], 3, v[1:2]
	ds_read_b32 v2, v16
	v_mov_b32_e32 v3, s1
	v_add_co_u32_e32 v0, vcc, s0, v0
	v_addc_co_u32_e32 v1, vcc, v3, v1, vcc
	s_waitcnt lgkmcnt(0)
	v_ashrrev_i32_e32 v3, 31, v2
	global_store_dwordx2 v[0:1], v[2:3], off offset:8
.LBB13_21:
	s_endpgm
	.section	.rodata,"a",@progbits
	.p2align	6, 0x0
	.amdhsa_kernel _ZN9rocsparseL46csr2bsr_nnz_wavefront_per_row_multipass_kernelILj256ELj16ELj4EliEEvT3_S1_S1_S1_S1_21rocsparse_index_base_PKT2_PKS1_S2_PS3_
		.amdhsa_group_segment_fixed_size 80
		.amdhsa_private_segment_fixed_size 0
		.amdhsa_kernarg_size 56
		.amdhsa_user_sgpr_count 6
		.amdhsa_user_sgpr_private_segment_buffer 1
		.amdhsa_user_sgpr_dispatch_ptr 0
		.amdhsa_user_sgpr_queue_ptr 0
		.amdhsa_user_sgpr_kernarg_segment_ptr 1
		.amdhsa_user_sgpr_dispatch_id 0
		.amdhsa_user_sgpr_flat_scratch_init 0
		.amdhsa_user_sgpr_private_segment_size 0
		.amdhsa_uses_dynamic_stack 0
		.amdhsa_system_sgpr_private_segment_wavefront_offset 0
		.amdhsa_system_sgpr_workgroup_id_x 1
		.amdhsa_system_sgpr_workgroup_id_y 0
		.amdhsa_system_sgpr_workgroup_id_z 0
		.amdhsa_system_sgpr_workgroup_info 0
		.amdhsa_system_vgpr_workitem_id 0
		.amdhsa_next_free_vgpr 26
		.amdhsa_next_free_sgpr 22
		.amdhsa_reserve_vcc 1
		.amdhsa_reserve_flat_scratch 0
		.amdhsa_float_round_mode_32 0
		.amdhsa_float_round_mode_16_64 0
		.amdhsa_float_denorm_mode_32 3
		.amdhsa_float_denorm_mode_16_64 3
		.amdhsa_dx10_clamp 1
		.amdhsa_ieee_mode 1
		.amdhsa_fp16_overflow 0
		.amdhsa_exception_fp_ieee_invalid_op 0
		.amdhsa_exception_fp_denorm_src 0
		.amdhsa_exception_fp_ieee_div_zero 0
		.amdhsa_exception_fp_ieee_overflow 0
		.amdhsa_exception_fp_ieee_underflow 0
		.amdhsa_exception_fp_ieee_inexact 0
		.amdhsa_exception_int_div_zero 0
	.end_amdhsa_kernel
	.section	.text._ZN9rocsparseL46csr2bsr_nnz_wavefront_per_row_multipass_kernelILj256ELj16ELj4EliEEvT3_S1_S1_S1_S1_21rocsparse_index_base_PKT2_PKS1_S2_PS3_,"axG",@progbits,_ZN9rocsparseL46csr2bsr_nnz_wavefront_per_row_multipass_kernelILj256ELj16ELj4EliEEvT3_S1_S1_S1_S1_21rocsparse_index_base_PKT2_PKS1_S2_PS3_,comdat
.Lfunc_end13:
	.size	_ZN9rocsparseL46csr2bsr_nnz_wavefront_per_row_multipass_kernelILj256ELj16ELj4EliEEvT3_S1_S1_S1_S1_21rocsparse_index_base_PKT2_PKS1_S2_PS3_, .Lfunc_end13-_ZN9rocsparseL46csr2bsr_nnz_wavefront_per_row_multipass_kernelILj256ELj16ELj4EliEEvT3_S1_S1_S1_S1_21rocsparse_index_base_PKT2_PKS1_S2_PS3_
                                        ; -- End function
	.set _ZN9rocsparseL46csr2bsr_nnz_wavefront_per_row_multipass_kernelILj256ELj16ELj4EliEEvT3_S1_S1_S1_S1_21rocsparse_index_base_PKT2_PKS1_S2_PS3_.num_vgpr, 26
	.set _ZN9rocsparseL46csr2bsr_nnz_wavefront_per_row_multipass_kernelILj256ELj16ELj4EliEEvT3_S1_S1_S1_S1_21rocsparse_index_base_PKT2_PKS1_S2_PS3_.num_agpr, 0
	.set _ZN9rocsparseL46csr2bsr_nnz_wavefront_per_row_multipass_kernelILj256ELj16ELj4EliEEvT3_S1_S1_S1_S1_21rocsparse_index_base_PKT2_PKS1_S2_PS3_.numbered_sgpr, 22
	.set _ZN9rocsparseL46csr2bsr_nnz_wavefront_per_row_multipass_kernelILj256ELj16ELj4EliEEvT3_S1_S1_S1_S1_21rocsparse_index_base_PKT2_PKS1_S2_PS3_.num_named_barrier, 0
	.set _ZN9rocsparseL46csr2bsr_nnz_wavefront_per_row_multipass_kernelILj256ELj16ELj4EliEEvT3_S1_S1_S1_S1_21rocsparse_index_base_PKT2_PKS1_S2_PS3_.private_seg_size, 0
	.set _ZN9rocsparseL46csr2bsr_nnz_wavefront_per_row_multipass_kernelILj256ELj16ELj4EliEEvT3_S1_S1_S1_S1_21rocsparse_index_base_PKT2_PKS1_S2_PS3_.uses_vcc, 1
	.set _ZN9rocsparseL46csr2bsr_nnz_wavefront_per_row_multipass_kernelILj256ELj16ELj4EliEEvT3_S1_S1_S1_S1_21rocsparse_index_base_PKT2_PKS1_S2_PS3_.uses_flat_scratch, 0
	.set _ZN9rocsparseL46csr2bsr_nnz_wavefront_per_row_multipass_kernelILj256ELj16ELj4EliEEvT3_S1_S1_S1_S1_21rocsparse_index_base_PKT2_PKS1_S2_PS3_.has_dyn_sized_stack, 0
	.set _ZN9rocsparseL46csr2bsr_nnz_wavefront_per_row_multipass_kernelILj256ELj16ELj4EliEEvT3_S1_S1_S1_S1_21rocsparse_index_base_PKT2_PKS1_S2_PS3_.has_recursion, 0
	.set _ZN9rocsparseL46csr2bsr_nnz_wavefront_per_row_multipass_kernelILj256ELj16ELj4EliEEvT3_S1_S1_S1_S1_21rocsparse_index_base_PKT2_PKS1_S2_PS3_.has_indirect_call, 0
	.section	.AMDGPU.csdata,"",@progbits
; Kernel info:
; codeLenInByte = 1112
; TotalNumSgprs: 26
; NumVgprs: 26
; ScratchSize: 0
; MemoryBound: 0
; FloatMode: 240
; IeeeMode: 1
; LDSByteSize: 80 bytes/workgroup (compile time only)
; SGPRBlocks: 3
; VGPRBlocks: 6
; NumSGPRsForWavesPerEU: 26
; NumVGPRsForWavesPerEU: 26
; Occupancy: 9
; WaveLimiterHint : 0
; COMPUTE_PGM_RSRC2:SCRATCH_EN: 0
; COMPUTE_PGM_RSRC2:USER_SGPR: 6
; COMPUTE_PGM_RSRC2:TRAP_HANDLER: 0
; COMPUTE_PGM_RSRC2:TGID_X_EN: 1
; COMPUTE_PGM_RSRC2:TGID_Y_EN: 0
; COMPUTE_PGM_RSRC2:TGID_Z_EN: 0
; COMPUTE_PGM_RSRC2:TIDIG_COMP_CNT: 0
	.section	.text._ZN9rocsparseL46csr2bsr_nnz_wavefront_per_row_multipass_kernelILj256ELj64ELj8EliEEvT3_S1_S1_S1_S1_21rocsparse_index_base_PKT2_PKS1_S2_PS3_,"axG",@progbits,_ZN9rocsparseL46csr2bsr_nnz_wavefront_per_row_multipass_kernelILj256ELj64ELj8EliEEvT3_S1_S1_S1_S1_21rocsparse_index_base_PKT2_PKS1_S2_PS3_,comdat
	.globl	_ZN9rocsparseL46csr2bsr_nnz_wavefront_per_row_multipass_kernelILj256ELj64ELj8EliEEvT3_S1_S1_S1_S1_21rocsparse_index_base_PKT2_PKS1_S2_PS3_ ; -- Begin function _ZN9rocsparseL46csr2bsr_nnz_wavefront_per_row_multipass_kernelILj256ELj64ELj8EliEEvT3_S1_S1_S1_S1_21rocsparse_index_base_PKT2_PKS1_S2_PS3_
	.p2align	8
	.type	_ZN9rocsparseL46csr2bsr_nnz_wavefront_per_row_multipass_kernelILj256ELj64ELj8EliEEvT3_S1_S1_S1_S1_21rocsparse_index_base_PKT2_PKS1_S2_PS3_,@function
_ZN9rocsparseL46csr2bsr_nnz_wavefront_per_row_multipass_kernelILj256ELj64ELj8EliEEvT3_S1_S1_S1_S1_21rocsparse_index_base_PKT2_PKS1_S2_PS3_: ; @_ZN9rocsparseL46csr2bsr_nnz_wavefront_per_row_multipass_kernelILj256ELj64ELj8EliEEvT3_S1_S1_S1_S1_21rocsparse_index_base_PKT2_PKS1_S2_PS3_
; %bb.0:
	s_load_dword s7, s[4:5], 0x0
	s_load_dwordx4 s[8:11], s[4:5], 0x8
	s_load_dwordx2 s[2:3], s[4:5], 0x18
	v_lshrrev_b32_e32 v17, 6, v0
	v_bfe_u32 v2, v0, 3, 3
	v_lshl_or_b32 v1, s6, 2, v17
	s_waitcnt lgkmcnt(0)
	v_mad_u64_u32 v[4:5], s[0:1], v1, s10, v[2:3]
	v_lshlrev_b32_e32 v16, 2, v17
	v_mov_b32_e32 v3, 0
	ds_write_b32 v16, v3
	v_cmp_gt_i32_e32 vcc, s7, v4
	v_cmp_gt_i32_e64 s[0:1], s10, v2
	v_mov_b32_e32 v2, 0
	v_mov_b32_e32 v6, 0
	;; [unrolled: 1-line block ×4, first 2 shown]
	s_and_b64 s[0:1], s[0:1], vcc
	s_waitcnt lgkmcnt(0)
	s_barrier
	s_and_saveexec_b64 s[6:7], s[0:1]
	s_cbranch_execz .LBB14_2
; %bb.1:
	v_ashrrev_i32_e32 v5, 31, v4
	v_lshlrev_b64 v[5:6], 3, v[4:5]
	v_mov_b32_e32 v7, s3
	v_add_co_u32_e32 v5, vcc, s2, v5
	v_addc_co_u32_e32 v6, vcc, v7, v6, vcc
	global_load_dwordx2 v[6:7], v[5:6], off
	s_waitcnt vmcnt(0)
	v_subrev_co_u32_e32 v6, vcc, s11, v6
	v_subbrev_co_u32_e32 v7, vcc, 0, v7, vcc
.LBB14_2:
	s_or_b64 exec, exec, s[6:7]
	s_and_saveexec_b64 s[6:7], s[0:1]
	s_cbranch_execz .LBB14_4
; %bb.3:
	v_ashrrev_i32_e32 v5, 31, v4
	v_lshlrev_b64 v[2:3], 3, v[4:5]
	v_mov_b32_e32 v4, s3
	v_add_co_u32_e32 v2, vcc, s2, v2
	v_addc_co_u32_e32 v3, vcc, v4, v3, vcc
	global_load_dwordx2 v[2:3], v[2:3], off offset:8
	s_waitcnt vmcnt(0)
	v_subrev_co_u32_e32 v2, vcc, s11, v2
	v_subbrev_co_u32_e32 v3, vcc, 0, v3, vcc
.LBB14_4:
	s_or_b64 exec, exec, s[6:7]
	v_and_b32_e32 v18, 63, v0
	s_cmp_lt_i32 s9, 1
	v_cmp_eq_u32_e32 vcc, 0, v18
	s_cbranch_scc1 .LBB14_18
; %bb.5:
	s_abs_i32 s18, s10
	v_cvt_f32_u32_e32 v4, s18
	s_sub_i32 s0, 0, s18
	s_load_dwordx2 s[6:7], s[4:5], 0x20
	v_mbcnt_lo_u32_b32 v9, -1, 0
	v_rcp_iflag_f32_e32 v4, v4
	v_mbcnt_hi_u32_b32 v9, -1, v9
	v_lshlrev_b32_e32 v9, 2, v9
	v_and_b32_e32 v0, 7, v0
	v_mul_f32_e32 v4, 0x4f7ffffe, v4
	v_cvt_u32_f32_e32 v8, v4
	v_mov_b32_e32 v4, 0
	v_mov_b32_e32 v19, 0
	s_ashr_i32 s10, s10, 31
	v_mul_lo_u32 v10, s0, v8
	s_mov_b64 s[12:13], 0
	v_mov_b32_e32 v5, 0
	v_or_b32_e32 v20, 28, v9
	v_mul_hi_u32 v10, v8, v10
	v_or_b32_e32 v21, 0xfc, v9
	v_mov_b32_e32 v23, 1
	v_add_u32_e32 v22, v8, v10
	s_branch .LBB14_7
.LBB14_6:                               ;   in Loop: Header=BB14_7 Depth=1
	s_or_b64 exec, exec, s[0:1]
	v_mov_b32_dpp v4, v24 row_shr:1 row_mask:0xf bank_mask:0xf
	v_min_i32_e32 v4, v4, v24
	s_waitcnt lgkmcnt(0)
	s_nop 0
	v_mov_b32_dpp v5, v4 row_shr:2 row_mask:0xf bank_mask:0xf
	v_min_i32_e32 v4, v5, v4
	s_nop 1
	v_mov_b32_dpp v5, v4 row_shr:4 row_mask:0xf bank_mask:0xe
	v_min_i32_e32 v4, v5, v4
	;; [unrolled: 3-line block ×3, first 2 shown]
	s_nop 1
	v_mov_b32_dpp v5, v4 row_bcast:15 row_mask:0xa bank_mask:0xf
	v_min_i32_e32 v4, v5, v4
	s_nop 1
	v_mov_b32_dpp v5, v4 row_bcast:31 row_mask:0xc bank_mask:0xf
	v_min_i32_e32 v4, v5, v4
	ds_bpermute_b32 v4, v21, v4
	s_waitcnt lgkmcnt(0)
	v_cmp_le_i32_e64 s[0:1], s9, v4
	v_ashrrev_i32_e32 v5, 31, v4
	s_or_b64 s[12:13], s[0:1], s[12:13]
	s_andn2_b64 exec, exec, s[12:13]
	s_cbranch_execz .LBB14_17
.LBB14_7:                               ; =>This Loop Header: Depth=1
                                        ;     Child Loop BB14_10 Depth 2
	v_add_co_u32_e64 v6, s[0:1], v6, v0
	v_addc_co_u32_e64 v7, s[0:1], 0, v7, s[0:1]
	v_cmp_lt_i64_e64 s[0:1], v[6:7], v[2:3]
	v_mov_b32_e32 v11, v3
	v_mov_b32_e32 v24, s9
	;; [unrolled: 1-line block ×3, first 2 shown]
	ds_write_b8 v17, v19 offset:16
	s_waitcnt lgkmcnt(0)
	s_and_saveexec_b64 s[14:15], s[0:1]
	s_cbranch_execz .LBB14_15
; %bb.8:                                ;   in Loop: Header=BB14_7 Depth=1
	v_lshlrev_b64 v[8:9], 2, v[6:7]
	v_mov_b32_e32 v10, s7
	v_add_co_u32_e64 v8, s[0:1], s6, v8
	v_addc_co_u32_e64 v9, s[0:1], v10, v9, s[0:1]
	v_mov_b32_e32 v11, v3
	s_mov_b64 s[16:17], 0
	v_mov_b32_e32 v24, s9
	v_mov_b32_e32 v10, v2
	s_branch .LBB14_10
.LBB14_9:                               ;   in Loop: Header=BB14_10 Depth=2
	s_or_b64 exec, exec, s[2:3]
	v_add_co_u32_e64 v6, s[2:3], 8, v6
	v_addc_co_u32_e64 v7, s[2:3], 0, v7, s[2:3]
	v_cmp_ge_i64_e64 s[2:3], v[6:7], v[2:3]
	s_xor_b64 s[0:1], s[0:1], -1
	s_or_b64 s[0:1], s[0:1], s[2:3]
	s_and_b64 s[0:1], exec, s[0:1]
	s_or_b64 s[16:17], s[0:1], s[16:17]
	v_add_co_u32_e64 v8, s[0:1], 32, v8
	v_addc_co_u32_e64 v9, s[0:1], 0, v9, s[0:1]
	s_andn2_b64 exec, exec, s[16:17]
	s_cbranch_execz .LBB14_14
.LBB14_10:                              ;   Parent Loop BB14_7 Depth=1
                                        ; =>  This Inner Loop Header: Depth=2
	global_load_dword v12, v[8:9], off
	s_waitcnt vmcnt(0)
	v_subrev_u32_e32 v12, s11, v12
	v_sub_u32_e32 v13, 0, v12
	v_max_i32_e32 v13, v12, v13
	v_mul_hi_u32 v14, v13, v22
	v_ashrrev_i32_e32 v12, 31, v12
	v_xor_b32_e32 v12, s10, v12
	v_mul_lo_u32 v15, v14, s18
	v_add_u32_e32 v25, 1, v14
	v_sub_u32_e32 v13, v13, v15
	v_cmp_le_u32_e64 s[0:1], s18, v13
	v_subrev_u32_e32 v15, s18, v13
	v_cndmask_b32_e64 v14, v14, v25, s[0:1]
	v_cndmask_b32_e64 v13, v13, v15, s[0:1]
	v_add_u32_e32 v15, 1, v14
	v_cmp_le_u32_e64 s[0:1], s18, v13
	v_cndmask_b32_e64 v13, v14, v15, s[0:1]
	v_xor_b32_e32 v13, v13, v12
	v_sub_u32_e32 v14, v13, v12
	v_ashrrev_i32_e32 v15, 31, v14
	v_cmp_eq_u64_e64 s[0:1], v[4:5], v[14:15]
	v_cmp_ne_u64_e64 s[2:3], v[4:5], v[14:15]
	v_mov_b32_e32 v13, v11
	v_mov_b32_e32 v12, v10
	s_and_saveexec_b64 s[20:21], s[2:3]
	s_xor_b64 s[2:3], exec, s[20:21]
; %bb.11:                               ;   in Loop: Header=BB14_10 Depth=2
	v_min_i32_e32 v24, v14, v24
                                        ; implicit-def: $vgpr12_vgpr13
; %bb.12:                               ;   in Loop: Header=BB14_10 Depth=2
	s_or_saveexec_b64 s[2:3], s[2:3]
	v_mov_b32_e32 v11, v7
	v_mov_b32_e32 v10, v6
	s_xor_b64 exec, exec, s[2:3]
	s_cbranch_execz .LBB14_9
; %bb.13:                               ;   in Loop: Header=BB14_10 Depth=2
	v_mov_b32_e32 v10, v12
	v_mov_b32_e32 v11, v13
	ds_write_b8 v17, v23 offset:16
	s_branch .LBB14_9
.LBB14_14:                              ;   in Loop: Header=BB14_7 Depth=1
	s_or_b64 exec, exec, s[16:17]
.LBB14_15:                              ;   in Loop: Header=BB14_7 Depth=1
	s_or_b64 exec, exec, s[14:15]
	v_mov_b32_dpp v4, v10 row_shr:1 row_mask:0xf bank_mask:0xf
	v_mov_b32_dpp v5, v11 row_shr:1 row_mask:0xf bank_mask:0xf
	v_cmp_lt_i64_e64 s[0:1], v[4:5], v[10:11]
	s_waitcnt lgkmcnt(0)
	v_cndmask_b32_e64 v5, v11, v5, s[0:1]
	v_cndmask_b32_e64 v4, v10, v4, s[0:1]
	ds_read_u8 v8, v17 offset:16
	v_mov_b32_dpp v7, v5 row_shr:2 row_mask:0xf bank_mask:0xf
	v_mov_b32_dpp v6, v4 row_shr:2 row_mask:0xf bank_mask:0xf
	v_cmp_lt_i64_e64 s[0:1], v[6:7], v[4:5]
	v_cndmask_b32_e64 v5, v5, v7, s[0:1]
	v_cndmask_b32_e64 v4, v4, v6, s[0:1]
	s_nop 0
	v_mov_b32_dpp v7, v5 row_shr:4 row_mask:0xf bank_mask:0xe
	v_mov_b32_dpp v6, v4 row_shr:4 row_mask:0xf bank_mask:0xe
	v_cmp_lt_i64_e64 s[0:1], v[6:7], v[4:5]
	v_cndmask_b32_e64 v5, v5, v7, s[0:1]
	v_cndmask_b32_e64 v4, v4, v6, s[0:1]
	ds_bpermute_b32 v6, v20, v4
	ds_bpermute_b32 v7, v20, v5
	s_waitcnt lgkmcnt(2)
	v_and_b32_e32 v4, 1, v8
	v_cmp_eq_u32_e64 s[0:1], 1, v4
	s_and_b64 s[2:3], vcc, s[0:1]
	s_and_saveexec_b64 s[0:1], s[2:3]
	s_cbranch_execz .LBB14_6
; %bb.16:                               ;   in Loop: Header=BB14_7 Depth=1
	ds_read_b32 v4, v16
	s_waitcnt lgkmcnt(0)
	v_add_u32_e32 v4, 1, v4
	ds_write_b32 v16, v4
	s_branch .LBB14_6
.LBB14_17:
	s_or_b64 exec, exec, s[12:13]
.LBB14_18:
	v_cmp_eq_u32_e32 vcc, 0, v18
	s_and_saveexec_b64 s[0:1], vcc
	s_cbranch_execz .LBB14_21
; %bb.19:
	s_load_dword s2, s[4:5], 0x28
	s_load_dwordx2 s[0:1], s[4:5], 0x30
	v_mov_b32_e32 v3, 0
	v_cmp_gt_u32_e32 vcc, s8, v1
	s_waitcnt lgkmcnt(0)
	v_mov_b32_e32 v2, s2
	global_store_dwordx2 v3, v[2:3], s[0:1]
	s_and_b64 exec, exec, vcc
	s_cbranch_execz .LBB14_21
; %bb.20:
	v_mov_b32_e32 v2, v3
	v_lshlrev_b64 v[0:1], 3, v[1:2]
	ds_read_b32 v2, v16
	v_mov_b32_e32 v3, s1
	v_add_co_u32_e32 v0, vcc, s0, v0
	v_addc_co_u32_e32 v1, vcc, v3, v1, vcc
	s_waitcnt lgkmcnt(0)
	v_ashrrev_i32_e32 v3, 31, v2
	global_store_dwordx2 v[0:1], v[2:3], off offset:8
.LBB14_21:
	s_endpgm
	.section	.rodata,"a",@progbits
	.p2align	6, 0x0
	.amdhsa_kernel _ZN9rocsparseL46csr2bsr_nnz_wavefront_per_row_multipass_kernelILj256ELj64ELj8EliEEvT3_S1_S1_S1_S1_21rocsparse_index_base_PKT2_PKS1_S2_PS3_
		.amdhsa_group_segment_fixed_size 20
		.amdhsa_private_segment_fixed_size 0
		.amdhsa_kernarg_size 56
		.amdhsa_user_sgpr_count 6
		.amdhsa_user_sgpr_private_segment_buffer 1
		.amdhsa_user_sgpr_dispatch_ptr 0
		.amdhsa_user_sgpr_queue_ptr 0
		.amdhsa_user_sgpr_kernarg_segment_ptr 1
		.amdhsa_user_sgpr_dispatch_id 0
		.amdhsa_user_sgpr_flat_scratch_init 0
		.amdhsa_user_sgpr_private_segment_size 0
		.amdhsa_uses_dynamic_stack 0
		.amdhsa_system_sgpr_private_segment_wavefront_offset 0
		.amdhsa_system_sgpr_workgroup_id_x 1
		.amdhsa_system_sgpr_workgroup_id_y 0
		.amdhsa_system_sgpr_workgroup_id_z 0
		.amdhsa_system_sgpr_workgroup_info 0
		.amdhsa_system_vgpr_workitem_id 0
		.amdhsa_next_free_vgpr 26
		.amdhsa_next_free_sgpr 22
		.amdhsa_reserve_vcc 1
		.amdhsa_reserve_flat_scratch 0
		.amdhsa_float_round_mode_32 0
		.amdhsa_float_round_mode_16_64 0
		.amdhsa_float_denorm_mode_32 3
		.amdhsa_float_denorm_mode_16_64 3
		.amdhsa_dx10_clamp 1
		.amdhsa_ieee_mode 1
		.amdhsa_fp16_overflow 0
		.amdhsa_exception_fp_ieee_invalid_op 0
		.amdhsa_exception_fp_denorm_src 0
		.amdhsa_exception_fp_ieee_div_zero 0
		.amdhsa_exception_fp_ieee_overflow 0
		.amdhsa_exception_fp_ieee_underflow 0
		.amdhsa_exception_fp_ieee_inexact 0
		.amdhsa_exception_int_div_zero 0
	.end_amdhsa_kernel
	.section	.text._ZN9rocsparseL46csr2bsr_nnz_wavefront_per_row_multipass_kernelILj256ELj64ELj8EliEEvT3_S1_S1_S1_S1_21rocsparse_index_base_PKT2_PKS1_S2_PS3_,"axG",@progbits,_ZN9rocsparseL46csr2bsr_nnz_wavefront_per_row_multipass_kernelILj256ELj64ELj8EliEEvT3_S1_S1_S1_S1_21rocsparse_index_base_PKT2_PKS1_S2_PS3_,comdat
.Lfunc_end14:
	.size	_ZN9rocsparseL46csr2bsr_nnz_wavefront_per_row_multipass_kernelILj256ELj64ELj8EliEEvT3_S1_S1_S1_S1_21rocsparse_index_base_PKT2_PKS1_S2_PS3_, .Lfunc_end14-_ZN9rocsparseL46csr2bsr_nnz_wavefront_per_row_multipass_kernelILj256ELj64ELj8EliEEvT3_S1_S1_S1_S1_21rocsparse_index_base_PKT2_PKS1_S2_PS3_
                                        ; -- End function
	.set _ZN9rocsparseL46csr2bsr_nnz_wavefront_per_row_multipass_kernelILj256ELj64ELj8EliEEvT3_S1_S1_S1_S1_21rocsparse_index_base_PKT2_PKS1_S2_PS3_.num_vgpr, 26
	.set _ZN9rocsparseL46csr2bsr_nnz_wavefront_per_row_multipass_kernelILj256ELj64ELj8EliEEvT3_S1_S1_S1_S1_21rocsparse_index_base_PKT2_PKS1_S2_PS3_.num_agpr, 0
	.set _ZN9rocsparseL46csr2bsr_nnz_wavefront_per_row_multipass_kernelILj256ELj64ELj8EliEEvT3_S1_S1_S1_S1_21rocsparse_index_base_PKT2_PKS1_S2_PS3_.numbered_sgpr, 22
	.set _ZN9rocsparseL46csr2bsr_nnz_wavefront_per_row_multipass_kernelILj256ELj64ELj8EliEEvT3_S1_S1_S1_S1_21rocsparse_index_base_PKT2_PKS1_S2_PS3_.num_named_barrier, 0
	.set _ZN9rocsparseL46csr2bsr_nnz_wavefront_per_row_multipass_kernelILj256ELj64ELj8EliEEvT3_S1_S1_S1_S1_21rocsparse_index_base_PKT2_PKS1_S2_PS3_.private_seg_size, 0
	.set _ZN9rocsparseL46csr2bsr_nnz_wavefront_per_row_multipass_kernelILj256ELj64ELj8EliEEvT3_S1_S1_S1_S1_21rocsparse_index_base_PKT2_PKS1_S2_PS3_.uses_vcc, 1
	.set _ZN9rocsparseL46csr2bsr_nnz_wavefront_per_row_multipass_kernelILj256ELj64ELj8EliEEvT3_S1_S1_S1_S1_21rocsparse_index_base_PKT2_PKS1_S2_PS3_.uses_flat_scratch, 0
	.set _ZN9rocsparseL46csr2bsr_nnz_wavefront_per_row_multipass_kernelILj256ELj64ELj8EliEEvT3_S1_S1_S1_S1_21rocsparse_index_base_PKT2_PKS1_S2_PS3_.has_dyn_sized_stack, 0
	.set _ZN9rocsparseL46csr2bsr_nnz_wavefront_per_row_multipass_kernelILj256ELj64ELj8EliEEvT3_S1_S1_S1_S1_21rocsparse_index_base_PKT2_PKS1_S2_PS3_.has_recursion, 0
	.set _ZN9rocsparseL46csr2bsr_nnz_wavefront_per_row_multipass_kernelILj256ELj64ELj8EliEEvT3_S1_S1_S1_S1_21rocsparse_index_base_PKT2_PKS1_S2_PS3_.has_indirect_call, 0
	.section	.AMDGPU.csdata,"",@progbits
; Kernel info:
; codeLenInByte = 1192
; TotalNumSgprs: 26
; NumVgprs: 26
; ScratchSize: 0
; MemoryBound: 0
; FloatMode: 240
; IeeeMode: 1
; LDSByteSize: 20 bytes/workgroup (compile time only)
; SGPRBlocks: 3
; VGPRBlocks: 6
; NumSGPRsForWavesPerEU: 26
; NumVGPRsForWavesPerEU: 26
; Occupancy: 9
; WaveLimiterHint : 0
; COMPUTE_PGM_RSRC2:SCRATCH_EN: 0
; COMPUTE_PGM_RSRC2:USER_SGPR: 6
; COMPUTE_PGM_RSRC2:TRAP_HANDLER: 0
; COMPUTE_PGM_RSRC2:TGID_X_EN: 1
; COMPUTE_PGM_RSRC2:TGID_Y_EN: 0
; COMPUTE_PGM_RSRC2:TGID_Z_EN: 0
; COMPUTE_PGM_RSRC2:TIDIG_COMP_CNT: 0
	.section	.text._ZN9rocsparseL46csr2bsr_nnz_wavefront_per_row_multipass_kernelILj256ELj32ELj8EliEEvT3_S1_S1_S1_S1_21rocsparse_index_base_PKT2_PKS1_S2_PS3_,"axG",@progbits,_ZN9rocsparseL46csr2bsr_nnz_wavefront_per_row_multipass_kernelILj256ELj32ELj8EliEEvT3_S1_S1_S1_S1_21rocsparse_index_base_PKT2_PKS1_S2_PS3_,comdat
	.globl	_ZN9rocsparseL46csr2bsr_nnz_wavefront_per_row_multipass_kernelILj256ELj32ELj8EliEEvT3_S1_S1_S1_S1_21rocsparse_index_base_PKT2_PKS1_S2_PS3_ ; -- Begin function _ZN9rocsparseL46csr2bsr_nnz_wavefront_per_row_multipass_kernelILj256ELj32ELj8EliEEvT3_S1_S1_S1_S1_21rocsparse_index_base_PKT2_PKS1_S2_PS3_
	.p2align	8
	.type	_ZN9rocsparseL46csr2bsr_nnz_wavefront_per_row_multipass_kernelILj256ELj32ELj8EliEEvT3_S1_S1_S1_S1_21rocsparse_index_base_PKT2_PKS1_S2_PS3_,@function
_ZN9rocsparseL46csr2bsr_nnz_wavefront_per_row_multipass_kernelILj256ELj32ELj8EliEEvT3_S1_S1_S1_S1_21rocsparse_index_base_PKT2_PKS1_S2_PS3_: ; @_ZN9rocsparseL46csr2bsr_nnz_wavefront_per_row_multipass_kernelILj256ELj32ELj8EliEEvT3_S1_S1_S1_S1_21rocsparse_index_base_PKT2_PKS1_S2_PS3_
; %bb.0:
	s_load_dword s7, s[4:5], 0x0
	s_load_dwordx4 s[8:11], s[4:5], 0x8
	s_load_dwordx2 s[2:3], s[4:5], 0x18
	v_lshrrev_b32_e32 v17, 5, v0
	v_bfe_u32 v2, v0, 2, 3
	v_lshl_or_b32 v1, s6, 3, v17
	s_waitcnt lgkmcnt(0)
	v_mad_u64_u32 v[4:5], s[0:1], v1, s10, v[2:3]
	v_lshlrev_b32_e32 v16, 2, v17
	v_mov_b32_e32 v3, 0
	ds_write_b32 v16, v3
	v_cmp_gt_i32_e32 vcc, s7, v4
	v_cmp_gt_i32_e64 s[0:1], s10, v2
	v_mov_b32_e32 v2, 0
	v_mov_b32_e32 v6, 0
	;; [unrolled: 1-line block ×4, first 2 shown]
	s_and_b64 s[0:1], s[0:1], vcc
	s_waitcnt lgkmcnt(0)
	s_barrier
	s_and_saveexec_b64 s[6:7], s[0:1]
	s_cbranch_execz .LBB15_2
; %bb.1:
	v_ashrrev_i32_e32 v5, 31, v4
	v_lshlrev_b64 v[5:6], 3, v[4:5]
	v_mov_b32_e32 v7, s3
	v_add_co_u32_e32 v5, vcc, s2, v5
	v_addc_co_u32_e32 v6, vcc, v7, v6, vcc
	global_load_dwordx2 v[6:7], v[5:6], off
	s_waitcnt vmcnt(0)
	v_subrev_co_u32_e32 v6, vcc, s11, v6
	v_subbrev_co_u32_e32 v7, vcc, 0, v7, vcc
.LBB15_2:
	s_or_b64 exec, exec, s[6:7]
	s_and_saveexec_b64 s[6:7], s[0:1]
	s_cbranch_execz .LBB15_4
; %bb.3:
	v_ashrrev_i32_e32 v5, 31, v4
	v_lshlrev_b64 v[2:3], 3, v[4:5]
	v_mov_b32_e32 v4, s3
	v_add_co_u32_e32 v2, vcc, s2, v2
	v_addc_co_u32_e32 v3, vcc, v4, v3, vcc
	global_load_dwordx2 v[2:3], v[2:3], off offset:8
	s_waitcnt vmcnt(0)
	v_subrev_co_u32_e32 v2, vcc, s11, v2
	v_subbrev_co_u32_e32 v3, vcc, 0, v3, vcc
.LBB15_4:
	s_or_b64 exec, exec, s[6:7]
	v_and_b32_e32 v18, 31, v0
	s_cmp_lt_i32 s9, 1
	v_cmp_eq_u32_e32 vcc, 0, v18
	s_cbranch_scc1 .LBB15_18
; %bb.5:
	s_abs_i32 s18, s10
	v_cvt_f32_u32_e32 v4, s18
	s_sub_i32 s0, 0, s18
	s_load_dwordx2 s[6:7], s[4:5], 0x20
	v_mbcnt_lo_u32_b32 v9, -1, 0
	v_rcp_iflag_f32_e32 v4, v4
	v_mbcnt_hi_u32_b32 v9, -1, v9
	v_lshlrev_b32_e32 v9, 2, v9
	v_and_b32_e32 v0, 3, v0
	v_mul_f32_e32 v4, 0x4f7ffffe, v4
	v_cvt_u32_f32_e32 v8, v4
	v_mov_b32_e32 v4, 0
	v_mov_b32_e32 v19, 0
	s_ashr_i32 s10, s10, 31
	v_mul_lo_u32 v10, s0, v8
	s_mov_b64 s[12:13], 0
	v_mov_b32_e32 v5, 0
	v_or_b32_e32 v20, 12, v9
	v_mul_hi_u32 v10, v8, v10
	v_or_b32_e32 v21, 0x7c, v9
	v_mov_b32_e32 v23, 1
	v_add_u32_e32 v22, v8, v10
	s_branch .LBB15_7
.LBB15_6:                               ;   in Loop: Header=BB15_7 Depth=1
	s_or_b64 exec, exec, s[0:1]
	v_mov_b32_dpp v4, v24 row_shr:1 row_mask:0xf bank_mask:0xf
	v_min_i32_e32 v4, v4, v24
	s_waitcnt lgkmcnt(0)
	s_nop 0
	v_mov_b32_dpp v5, v4 row_shr:2 row_mask:0xf bank_mask:0xf
	v_min_i32_e32 v4, v5, v4
	s_nop 1
	v_mov_b32_dpp v5, v4 row_shr:4 row_mask:0xf bank_mask:0xe
	v_min_i32_e32 v4, v5, v4
	;; [unrolled: 3-line block ×3, first 2 shown]
	s_nop 1
	v_mov_b32_dpp v5, v4 row_bcast:15 row_mask:0xa bank_mask:0xf
	v_min_i32_e32 v4, v5, v4
	ds_bpermute_b32 v4, v21, v4
	s_waitcnt lgkmcnt(0)
	v_cmp_le_i32_e64 s[0:1], s9, v4
	v_ashrrev_i32_e32 v5, 31, v4
	s_or_b64 s[12:13], s[0:1], s[12:13]
	s_andn2_b64 exec, exec, s[12:13]
	s_cbranch_execz .LBB15_17
.LBB15_7:                               ; =>This Loop Header: Depth=1
                                        ;     Child Loop BB15_10 Depth 2
	v_add_co_u32_e64 v6, s[0:1], v6, v0
	v_addc_co_u32_e64 v7, s[0:1], 0, v7, s[0:1]
	v_cmp_lt_i64_e64 s[0:1], v[6:7], v[2:3]
	v_mov_b32_e32 v11, v3
	v_mov_b32_e32 v24, s9
	;; [unrolled: 1-line block ×3, first 2 shown]
	ds_write_b8 v17, v19 offset:32
	s_waitcnt lgkmcnt(0)
	s_and_saveexec_b64 s[14:15], s[0:1]
	s_cbranch_execz .LBB15_15
; %bb.8:                                ;   in Loop: Header=BB15_7 Depth=1
	v_lshlrev_b64 v[8:9], 2, v[6:7]
	v_mov_b32_e32 v10, s7
	v_add_co_u32_e64 v8, s[0:1], s6, v8
	v_addc_co_u32_e64 v9, s[0:1], v10, v9, s[0:1]
	v_mov_b32_e32 v11, v3
	s_mov_b64 s[16:17], 0
	v_mov_b32_e32 v24, s9
	v_mov_b32_e32 v10, v2
	s_branch .LBB15_10
.LBB15_9:                               ;   in Loop: Header=BB15_10 Depth=2
	s_or_b64 exec, exec, s[2:3]
	v_add_co_u32_e64 v6, s[2:3], 4, v6
	v_addc_co_u32_e64 v7, s[2:3], 0, v7, s[2:3]
	v_cmp_ge_i64_e64 s[2:3], v[6:7], v[2:3]
	s_xor_b64 s[0:1], s[0:1], -1
	s_or_b64 s[0:1], s[0:1], s[2:3]
	s_and_b64 s[0:1], exec, s[0:1]
	s_or_b64 s[16:17], s[0:1], s[16:17]
	v_add_co_u32_e64 v8, s[0:1], 16, v8
	v_addc_co_u32_e64 v9, s[0:1], 0, v9, s[0:1]
	s_andn2_b64 exec, exec, s[16:17]
	s_cbranch_execz .LBB15_14
.LBB15_10:                              ;   Parent Loop BB15_7 Depth=1
                                        ; =>  This Inner Loop Header: Depth=2
	global_load_dword v12, v[8:9], off
	s_waitcnt vmcnt(0)
	v_subrev_u32_e32 v12, s11, v12
	v_sub_u32_e32 v13, 0, v12
	v_max_i32_e32 v13, v12, v13
	v_mul_hi_u32 v14, v13, v22
	v_ashrrev_i32_e32 v12, 31, v12
	v_xor_b32_e32 v12, s10, v12
	v_mul_lo_u32 v15, v14, s18
	v_add_u32_e32 v25, 1, v14
	v_sub_u32_e32 v13, v13, v15
	v_cmp_le_u32_e64 s[0:1], s18, v13
	v_subrev_u32_e32 v15, s18, v13
	v_cndmask_b32_e64 v14, v14, v25, s[0:1]
	v_cndmask_b32_e64 v13, v13, v15, s[0:1]
	v_add_u32_e32 v15, 1, v14
	v_cmp_le_u32_e64 s[0:1], s18, v13
	v_cndmask_b32_e64 v13, v14, v15, s[0:1]
	v_xor_b32_e32 v13, v13, v12
	v_sub_u32_e32 v14, v13, v12
	v_ashrrev_i32_e32 v15, 31, v14
	v_cmp_eq_u64_e64 s[0:1], v[4:5], v[14:15]
	v_cmp_ne_u64_e64 s[2:3], v[4:5], v[14:15]
	v_mov_b32_e32 v13, v11
	v_mov_b32_e32 v12, v10
	s_and_saveexec_b64 s[20:21], s[2:3]
	s_xor_b64 s[2:3], exec, s[20:21]
; %bb.11:                               ;   in Loop: Header=BB15_10 Depth=2
	v_min_i32_e32 v24, v14, v24
                                        ; implicit-def: $vgpr12_vgpr13
; %bb.12:                               ;   in Loop: Header=BB15_10 Depth=2
	s_or_saveexec_b64 s[2:3], s[2:3]
	v_mov_b32_e32 v11, v7
	v_mov_b32_e32 v10, v6
	s_xor_b64 exec, exec, s[2:3]
	s_cbranch_execz .LBB15_9
; %bb.13:                               ;   in Loop: Header=BB15_10 Depth=2
	v_mov_b32_e32 v10, v12
	v_mov_b32_e32 v11, v13
	ds_write_b8 v17, v23 offset:32
	s_branch .LBB15_9
.LBB15_14:                              ;   in Loop: Header=BB15_7 Depth=1
	s_or_b64 exec, exec, s[16:17]
.LBB15_15:                              ;   in Loop: Header=BB15_7 Depth=1
	s_or_b64 exec, exec, s[14:15]
	v_mov_b32_dpp v4, v10 row_shr:1 row_mask:0xf bank_mask:0xf
	v_mov_b32_dpp v5, v11 row_shr:1 row_mask:0xf bank_mask:0xf
	v_cmp_lt_i64_e64 s[0:1], v[4:5], v[10:11]
	s_waitcnt lgkmcnt(0)
	v_cndmask_b32_e64 v5, v11, v5, s[0:1]
	v_cndmask_b32_e64 v4, v10, v4, s[0:1]
	ds_read_u8 v8, v17 offset:32
	v_mov_b32_dpp v7, v5 row_shr:2 row_mask:0xf bank_mask:0xf
	v_mov_b32_dpp v6, v4 row_shr:2 row_mask:0xf bank_mask:0xf
	v_cmp_lt_i64_e64 s[0:1], v[6:7], v[4:5]
	v_cndmask_b32_e64 v5, v5, v7, s[0:1]
	v_cndmask_b32_e64 v4, v4, v6, s[0:1]
	ds_bpermute_b32 v6, v20, v4
	ds_bpermute_b32 v7, v20, v5
	s_waitcnt lgkmcnt(2)
	v_and_b32_e32 v4, 1, v8
	v_cmp_eq_u32_e64 s[0:1], 1, v4
	s_and_b64 s[2:3], vcc, s[0:1]
	s_and_saveexec_b64 s[0:1], s[2:3]
	s_cbranch_execz .LBB15_6
; %bb.16:                               ;   in Loop: Header=BB15_7 Depth=1
	ds_read_b32 v4, v16
	s_waitcnt lgkmcnt(0)
	v_add_u32_e32 v4, 1, v4
	ds_write_b32 v16, v4
	s_branch .LBB15_6
.LBB15_17:
	s_or_b64 exec, exec, s[12:13]
.LBB15_18:
	v_cmp_eq_u32_e32 vcc, 0, v18
	s_and_saveexec_b64 s[0:1], vcc
	s_cbranch_execz .LBB15_21
; %bb.19:
	s_load_dword s2, s[4:5], 0x28
	s_load_dwordx2 s[0:1], s[4:5], 0x30
	v_mov_b32_e32 v3, 0
	v_cmp_gt_u32_e32 vcc, s8, v1
	s_waitcnt lgkmcnt(0)
	v_mov_b32_e32 v2, s2
	global_store_dwordx2 v3, v[2:3], s[0:1]
	s_and_b64 exec, exec, vcc
	s_cbranch_execz .LBB15_21
; %bb.20:
	v_mov_b32_e32 v2, v3
	v_lshlrev_b64 v[0:1], 3, v[1:2]
	ds_read_b32 v2, v16
	v_mov_b32_e32 v3, s1
	v_add_co_u32_e32 v0, vcc, s0, v0
	v_addc_co_u32_e32 v1, vcc, v3, v1, vcc
	s_waitcnt lgkmcnt(0)
	v_ashrrev_i32_e32 v3, 31, v2
	global_store_dwordx2 v[0:1], v[2:3], off offset:8
.LBB15_21:
	s_endpgm
	.section	.rodata,"a",@progbits
	.p2align	6, 0x0
	.amdhsa_kernel _ZN9rocsparseL46csr2bsr_nnz_wavefront_per_row_multipass_kernelILj256ELj32ELj8EliEEvT3_S1_S1_S1_S1_21rocsparse_index_base_PKT2_PKS1_S2_PS3_
		.amdhsa_group_segment_fixed_size 40
		.amdhsa_private_segment_fixed_size 0
		.amdhsa_kernarg_size 56
		.amdhsa_user_sgpr_count 6
		.amdhsa_user_sgpr_private_segment_buffer 1
		.amdhsa_user_sgpr_dispatch_ptr 0
		.amdhsa_user_sgpr_queue_ptr 0
		.amdhsa_user_sgpr_kernarg_segment_ptr 1
		.amdhsa_user_sgpr_dispatch_id 0
		.amdhsa_user_sgpr_flat_scratch_init 0
		.amdhsa_user_sgpr_private_segment_size 0
		.amdhsa_uses_dynamic_stack 0
		.amdhsa_system_sgpr_private_segment_wavefront_offset 0
		.amdhsa_system_sgpr_workgroup_id_x 1
		.amdhsa_system_sgpr_workgroup_id_y 0
		.amdhsa_system_sgpr_workgroup_id_z 0
		.amdhsa_system_sgpr_workgroup_info 0
		.amdhsa_system_vgpr_workitem_id 0
		.amdhsa_next_free_vgpr 26
		.amdhsa_next_free_sgpr 22
		.amdhsa_reserve_vcc 1
		.amdhsa_reserve_flat_scratch 0
		.amdhsa_float_round_mode_32 0
		.amdhsa_float_round_mode_16_64 0
		.amdhsa_float_denorm_mode_32 3
		.amdhsa_float_denorm_mode_16_64 3
		.amdhsa_dx10_clamp 1
		.amdhsa_ieee_mode 1
		.amdhsa_fp16_overflow 0
		.amdhsa_exception_fp_ieee_invalid_op 0
		.amdhsa_exception_fp_denorm_src 0
		.amdhsa_exception_fp_ieee_div_zero 0
		.amdhsa_exception_fp_ieee_overflow 0
		.amdhsa_exception_fp_ieee_underflow 0
		.amdhsa_exception_fp_ieee_inexact 0
		.amdhsa_exception_int_div_zero 0
	.end_amdhsa_kernel
	.section	.text._ZN9rocsparseL46csr2bsr_nnz_wavefront_per_row_multipass_kernelILj256ELj32ELj8EliEEvT3_S1_S1_S1_S1_21rocsparse_index_base_PKT2_PKS1_S2_PS3_,"axG",@progbits,_ZN9rocsparseL46csr2bsr_nnz_wavefront_per_row_multipass_kernelILj256ELj32ELj8EliEEvT3_S1_S1_S1_S1_21rocsparse_index_base_PKT2_PKS1_S2_PS3_,comdat
.Lfunc_end15:
	.size	_ZN9rocsparseL46csr2bsr_nnz_wavefront_per_row_multipass_kernelILj256ELj32ELj8EliEEvT3_S1_S1_S1_S1_21rocsparse_index_base_PKT2_PKS1_S2_PS3_, .Lfunc_end15-_ZN9rocsparseL46csr2bsr_nnz_wavefront_per_row_multipass_kernelILj256ELj32ELj8EliEEvT3_S1_S1_S1_S1_21rocsparse_index_base_PKT2_PKS1_S2_PS3_
                                        ; -- End function
	.set _ZN9rocsparseL46csr2bsr_nnz_wavefront_per_row_multipass_kernelILj256ELj32ELj8EliEEvT3_S1_S1_S1_S1_21rocsparse_index_base_PKT2_PKS1_S2_PS3_.num_vgpr, 26
	.set _ZN9rocsparseL46csr2bsr_nnz_wavefront_per_row_multipass_kernelILj256ELj32ELj8EliEEvT3_S1_S1_S1_S1_21rocsparse_index_base_PKT2_PKS1_S2_PS3_.num_agpr, 0
	.set _ZN9rocsparseL46csr2bsr_nnz_wavefront_per_row_multipass_kernelILj256ELj32ELj8EliEEvT3_S1_S1_S1_S1_21rocsparse_index_base_PKT2_PKS1_S2_PS3_.numbered_sgpr, 22
	.set _ZN9rocsparseL46csr2bsr_nnz_wavefront_per_row_multipass_kernelILj256ELj32ELj8EliEEvT3_S1_S1_S1_S1_21rocsparse_index_base_PKT2_PKS1_S2_PS3_.num_named_barrier, 0
	.set _ZN9rocsparseL46csr2bsr_nnz_wavefront_per_row_multipass_kernelILj256ELj32ELj8EliEEvT3_S1_S1_S1_S1_21rocsparse_index_base_PKT2_PKS1_S2_PS3_.private_seg_size, 0
	.set _ZN9rocsparseL46csr2bsr_nnz_wavefront_per_row_multipass_kernelILj256ELj32ELj8EliEEvT3_S1_S1_S1_S1_21rocsparse_index_base_PKT2_PKS1_S2_PS3_.uses_vcc, 1
	.set _ZN9rocsparseL46csr2bsr_nnz_wavefront_per_row_multipass_kernelILj256ELj32ELj8EliEEvT3_S1_S1_S1_S1_21rocsparse_index_base_PKT2_PKS1_S2_PS3_.uses_flat_scratch, 0
	.set _ZN9rocsparseL46csr2bsr_nnz_wavefront_per_row_multipass_kernelILj256ELj32ELj8EliEEvT3_S1_S1_S1_S1_21rocsparse_index_base_PKT2_PKS1_S2_PS3_.has_dyn_sized_stack, 0
	.set _ZN9rocsparseL46csr2bsr_nnz_wavefront_per_row_multipass_kernelILj256ELj32ELj8EliEEvT3_S1_S1_S1_S1_21rocsparse_index_base_PKT2_PKS1_S2_PS3_.has_recursion, 0
	.set _ZN9rocsparseL46csr2bsr_nnz_wavefront_per_row_multipass_kernelILj256ELj32ELj8EliEEvT3_S1_S1_S1_S1_21rocsparse_index_base_PKT2_PKS1_S2_PS3_.has_indirect_call, 0
	.section	.AMDGPU.csdata,"",@progbits
; Kernel info:
; codeLenInByte = 1132
; TotalNumSgprs: 26
; NumVgprs: 26
; ScratchSize: 0
; MemoryBound: 0
; FloatMode: 240
; IeeeMode: 1
; LDSByteSize: 40 bytes/workgroup (compile time only)
; SGPRBlocks: 3
; VGPRBlocks: 6
; NumSGPRsForWavesPerEU: 26
; NumVGPRsForWavesPerEU: 26
; Occupancy: 9
; WaveLimiterHint : 0
; COMPUTE_PGM_RSRC2:SCRATCH_EN: 0
; COMPUTE_PGM_RSRC2:USER_SGPR: 6
; COMPUTE_PGM_RSRC2:TRAP_HANDLER: 0
; COMPUTE_PGM_RSRC2:TGID_X_EN: 1
; COMPUTE_PGM_RSRC2:TGID_Y_EN: 0
; COMPUTE_PGM_RSRC2:TGID_Z_EN: 0
; COMPUTE_PGM_RSRC2:TIDIG_COMP_CNT: 0
	.section	.text._ZN9rocsparseL46csr2bsr_nnz_wavefront_per_row_multipass_kernelILj256ELj64ELj16EliEEvT3_S1_S1_S1_S1_21rocsparse_index_base_PKT2_PKS1_S2_PS3_,"axG",@progbits,_ZN9rocsparseL46csr2bsr_nnz_wavefront_per_row_multipass_kernelILj256ELj64ELj16EliEEvT3_S1_S1_S1_S1_21rocsparse_index_base_PKT2_PKS1_S2_PS3_,comdat
	.globl	_ZN9rocsparseL46csr2bsr_nnz_wavefront_per_row_multipass_kernelILj256ELj64ELj16EliEEvT3_S1_S1_S1_S1_21rocsparse_index_base_PKT2_PKS1_S2_PS3_ ; -- Begin function _ZN9rocsparseL46csr2bsr_nnz_wavefront_per_row_multipass_kernelILj256ELj64ELj16EliEEvT3_S1_S1_S1_S1_21rocsparse_index_base_PKT2_PKS1_S2_PS3_
	.p2align	8
	.type	_ZN9rocsparseL46csr2bsr_nnz_wavefront_per_row_multipass_kernelILj256ELj64ELj16EliEEvT3_S1_S1_S1_S1_21rocsparse_index_base_PKT2_PKS1_S2_PS3_,@function
_ZN9rocsparseL46csr2bsr_nnz_wavefront_per_row_multipass_kernelILj256ELj64ELj16EliEEvT3_S1_S1_S1_S1_21rocsparse_index_base_PKT2_PKS1_S2_PS3_: ; @_ZN9rocsparseL46csr2bsr_nnz_wavefront_per_row_multipass_kernelILj256ELj64ELj16EliEEvT3_S1_S1_S1_S1_21rocsparse_index_base_PKT2_PKS1_S2_PS3_
; %bb.0:
	s_load_dword s7, s[4:5], 0x0
	s_load_dwordx4 s[8:11], s[4:5], 0x8
	s_load_dwordx2 s[2:3], s[4:5], 0x18
	v_lshrrev_b32_e32 v17, 6, v0
	v_bfe_u32 v2, v0, 2, 4
	v_lshl_or_b32 v1, s6, 2, v17
	s_waitcnt lgkmcnt(0)
	v_mad_u64_u32 v[4:5], s[0:1], v1, s10, v[2:3]
	v_lshlrev_b32_e32 v16, 2, v17
	v_mov_b32_e32 v3, 0
	ds_write_b32 v16, v3
	v_cmp_gt_i32_e32 vcc, s7, v4
	v_cmp_gt_i32_e64 s[0:1], s10, v2
	v_mov_b32_e32 v2, 0
	v_mov_b32_e32 v6, 0
	;; [unrolled: 1-line block ×4, first 2 shown]
	s_and_b64 s[0:1], s[0:1], vcc
	s_waitcnt lgkmcnt(0)
	s_barrier
	s_and_saveexec_b64 s[6:7], s[0:1]
	s_cbranch_execz .LBB16_2
; %bb.1:
	v_ashrrev_i32_e32 v5, 31, v4
	v_lshlrev_b64 v[5:6], 3, v[4:5]
	v_mov_b32_e32 v7, s3
	v_add_co_u32_e32 v5, vcc, s2, v5
	v_addc_co_u32_e32 v6, vcc, v7, v6, vcc
	global_load_dwordx2 v[6:7], v[5:6], off
	s_waitcnt vmcnt(0)
	v_subrev_co_u32_e32 v6, vcc, s11, v6
	v_subbrev_co_u32_e32 v7, vcc, 0, v7, vcc
.LBB16_2:
	s_or_b64 exec, exec, s[6:7]
	s_and_saveexec_b64 s[6:7], s[0:1]
	s_cbranch_execz .LBB16_4
; %bb.3:
	v_ashrrev_i32_e32 v5, 31, v4
	v_lshlrev_b64 v[2:3], 3, v[4:5]
	v_mov_b32_e32 v4, s3
	v_add_co_u32_e32 v2, vcc, s2, v2
	v_addc_co_u32_e32 v3, vcc, v4, v3, vcc
	global_load_dwordx2 v[2:3], v[2:3], off offset:8
	s_waitcnt vmcnt(0)
	v_subrev_co_u32_e32 v2, vcc, s11, v2
	v_subbrev_co_u32_e32 v3, vcc, 0, v3, vcc
.LBB16_4:
	s_or_b64 exec, exec, s[6:7]
	v_and_b32_e32 v18, 63, v0
	s_cmp_lt_i32 s9, 1
	v_cmp_eq_u32_e32 vcc, 0, v18
	s_cbranch_scc1 .LBB16_18
; %bb.5:
	s_abs_i32 s18, s10
	v_cvt_f32_u32_e32 v4, s18
	s_sub_i32 s0, 0, s18
	s_load_dwordx2 s[6:7], s[4:5], 0x20
	v_mbcnt_lo_u32_b32 v9, -1, 0
	v_rcp_iflag_f32_e32 v4, v4
	v_mbcnt_hi_u32_b32 v9, -1, v9
	v_lshlrev_b32_e32 v9, 2, v9
	v_and_b32_e32 v0, 3, v0
	v_mul_f32_e32 v4, 0x4f7ffffe, v4
	v_cvt_u32_f32_e32 v8, v4
	v_mov_b32_e32 v4, 0
	v_mov_b32_e32 v19, 0
	s_ashr_i32 s10, s10, 31
	v_mul_lo_u32 v10, s0, v8
	s_mov_b64 s[12:13], 0
	v_mov_b32_e32 v5, 0
	v_or_b32_e32 v20, 12, v9
	v_mul_hi_u32 v10, v8, v10
	v_or_b32_e32 v21, 0xfc, v9
	v_mov_b32_e32 v23, 1
	v_add_u32_e32 v22, v8, v10
	s_branch .LBB16_7
.LBB16_6:                               ;   in Loop: Header=BB16_7 Depth=1
	s_or_b64 exec, exec, s[0:1]
	v_mov_b32_dpp v4, v24 row_shr:1 row_mask:0xf bank_mask:0xf
	v_min_i32_e32 v4, v4, v24
	s_waitcnt lgkmcnt(0)
	s_nop 0
	v_mov_b32_dpp v5, v4 row_shr:2 row_mask:0xf bank_mask:0xf
	v_min_i32_e32 v4, v5, v4
	s_nop 1
	v_mov_b32_dpp v5, v4 row_shr:4 row_mask:0xf bank_mask:0xe
	v_min_i32_e32 v4, v5, v4
	;; [unrolled: 3-line block ×3, first 2 shown]
	s_nop 1
	v_mov_b32_dpp v5, v4 row_bcast:15 row_mask:0xa bank_mask:0xf
	v_min_i32_e32 v4, v5, v4
	s_nop 1
	v_mov_b32_dpp v5, v4 row_bcast:31 row_mask:0xc bank_mask:0xf
	v_min_i32_e32 v4, v5, v4
	ds_bpermute_b32 v4, v21, v4
	s_waitcnt lgkmcnt(0)
	v_cmp_le_i32_e64 s[0:1], s9, v4
	v_ashrrev_i32_e32 v5, 31, v4
	s_or_b64 s[12:13], s[0:1], s[12:13]
	s_andn2_b64 exec, exec, s[12:13]
	s_cbranch_execz .LBB16_17
.LBB16_7:                               ; =>This Loop Header: Depth=1
                                        ;     Child Loop BB16_10 Depth 2
	v_add_co_u32_e64 v6, s[0:1], v6, v0
	v_addc_co_u32_e64 v7, s[0:1], 0, v7, s[0:1]
	v_cmp_lt_i64_e64 s[0:1], v[6:7], v[2:3]
	v_mov_b32_e32 v11, v3
	v_mov_b32_e32 v24, s9
	;; [unrolled: 1-line block ×3, first 2 shown]
	ds_write_b8 v17, v19 offset:16
	s_waitcnt lgkmcnt(0)
	s_and_saveexec_b64 s[14:15], s[0:1]
	s_cbranch_execz .LBB16_15
; %bb.8:                                ;   in Loop: Header=BB16_7 Depth=1
	v_lshlrev_b64 v[8:9], 2, v[6:7]
	v_mov_b32_e32 v10, s7
	v_add_co_u32_e64 v8, s[0:1], s6, v8
	v_addc_co_u32_e64 v9, s[0:1], v10, v9, s[0:1]
	v_mov_b32_e32 v11, v3
	s_mov_b64 s[16:17], 0
	v_mov_b32_e32 v24, s9
	v_mov_b32_e32 v10, v2
	s_branch .LBB16_10
.LBB16_9:                               ;   in Loop: Header=BB16_10 Depth=2
	s_or_b64 exec, exec, s[2:3]
	v_add_co_u32_e64 v6, s[2:3], 4, v6
	v_addc_co_u32_e64 v7, s[2:3], 0, v7, s[2:3]
	v_cmp_ge_i64_e64 s[2:3], v[6:7], v[2:3]
	s_xor_b64 s[0:1], s[0:1], -1
	s_or_b64 s[0:1], s[0:1], s[2:3]
	s_and_b64 s[0:1], exec, s[0:1]
	s_or_b64 s[16:17], s[0:1], s[16:17]
	v_add_co_u32_e64 v8, s[0:1], 16, v8
	v_addc_co_u32_e64 v9, s[0:1], 0, v9, s[0:1]
	s_andn2_b64 exec, exec, s[16:17]
	s_cbranch_execz .LBB16_14
.LBB16_10:                              ;   Parent Loop BB16_7 Depth=1
                                        ; =>  This Inner Loop Header: Depth=2
	global_load_dword v12, v[8:9], off
	s_waitcnt vmcnt(0)
	v_subrev_u32_e32 v12, s11, v12
	v_sub_u32_e32 v13, 0, v12
	v_max_i32_e32 v13, v12, v13
	v_mul_hi_u32 v14, v13, v22
	v_ashrrev_i32_e32 v12, 31, v12
	v_xor_b32_e32 v12, s10, v12
	v_mul_lo_u32 v15, v14, s18
	v_add_u32_e32 v25, 1, v14
	v_sub_u32_e32 v13, v13, v15
	v_cmp_le_u32_e64 s[0:1], s18, v13
	v_subrev_u32_e32 v15, s18, v13
	v_cndmask_b32_e64 v14, v14, v25, s[0:1]
	v_cndmask_b32_e64 v13, v13, v15, s[0:1]
	v_add_u32_e32 v15, 1, v14
	v_cmp_le_u32_e64 s[0:1], s18, v13
	v_cndmask_b32_e64 v13, v14, v15, s[0:1]
	v_xor_b32_e32 v13, v13, v12
	v_sub_u32_e32 v14, v13, v12
	v_ashrrev_i32_e32 v15, 31, v14
	v_cmp_eq_u64_e64 s[0:1], v[4:5], v[14:15]
	v_cmp_ne_u64_e64 s[2:3], v[4:5], v[14:15]
	v_mov_b32_e32 v13, v11
	v_mov_b32_e32 v12, v10
	s_and_saveexec_b64 s[20:21], s[2:3]
	s_xor_b64 s[2:3], exec, s[20:21]
; %bb.11:                               ;   in Loop: Header=BB16_10 Depth=2
	v_min_i32_e32 v24, v14, v24
                                        ; implicit-def: $vgpr12_vgpr13
; %bb.12:                               ;   in Loop: Header=BB16_10 Depth=2
	s_or_saveexec_b64 s[2:3], s[2:3]
	v_mov_b32_e32 v11, v7
	v_mov_b32_e32 v10, v6
	s_xor_b64 exec, exec, s[2:3]
	s_cbranch_execz .LBB16_9
; %bb.13:                               ;   in Loop: Header=BB16_10 Depth=2
	v_mov_b32_e32 v10, v12
	v_mov_b32_e32 v11, v13
	ds_write_b8 v17, v23 offset:16
	s_branch .LBB16_9
.LBB16_14:                              ;   in Loop: Header=BB16_7 Depth=1
	s_or_b64 exec, exec, s[16:17]
.LBB16_15:                              ;   in Loop: Header=BB16_7 Depth=1
	s_or_b64 exec, exec, s[14:15]
	v_mov_b32_dpp v4, v10 row_shr:1 row_mask:0xf bank_mask:0xf
	v_mov_b32_dpp v5, v11 row_shr:1 row_mask:0xf bank_mask:0xf
	v_cmp_lt_i64_e64 s[0:1], v[4:5], v[10:11]
	s_waitcnt lgkmcnt(0)
	v_cndmask_b32_e64 v5, v11, v5, s[0:1]
	v_cndmask_b32_e64 v4, v10, v4, s[0:1]
	ds_read_u8 v8, v17 offset:16
	v_mov_b32_dpp v7, v5 row_shr:2 row_mask:0xf bank_mask:0xf
	v_mov_b32_dpp v6, v4 row_shr:2 row_mask:0xf bank_mask:0xf
	v_cmp_lt_i64_e64 s[0:1], v[6:7], v[4:5]
	v_cndmask_b32_e64 v5, v5, v7, s[0:1]
	v_cndmask_b32_e64 v4, v4, v6, s[0:1]
	ds_bpermute_b32 v6, v20, v4
	ds_bpermute_b32 v7, v20, v5
	s_waitcnt lgkmcnt(2)
	v_and_b32_e32 v4, 1, v8
	v_cmp_eq_u32_e64 s[0:1], 1, v4
	s_and_b64 s[2:3], vcc, s[0:1]
	s_and_saveexec_b64 s[0:1], s[2:3]
	s_cbranch_execz .LBB16_6
; %bb.16:                               ;   in Loop: Header=BB16_7 Depth=1
	ds_read_b32 v4, v16
	s_waitcnt lgkmcnt(0)
	v_add_u32_e32 v4, 1, v4
	ds_write_b32 v16, v4
	s_branch .LBB16_6
.LBB16_17:
	s_or_b64 exec, exec, s[12:13]
.LBB16_18:
	v_cmp_eq_u32_e32 vcc, 0, v18
	s_and_saveexec_b64 s[0:1], vcc
	s_cbranch_execz .LBB16_21
; %bb.19:
	s_load_dword s2, s[4:5], 0x28
	s_load_dwordx2 s[0:1], s[4:5], 0x30
	v_mov_b32_e32 v3, 0
	v_cmp_gt_u32_e32 vcc, s8, v1
	s_waitcnt lgkmcnt(0)
	v_mov_b32_e32 v2, s2
	global_store_dwordx2 v3, v[2:3], s[0:1]
	s_and_b64 exec, exec, vcc
	s_cbranch_execz .LBB16_21
; %bb.20:
	v_mov_b32_e32 v2, v3
	v_lshlrev_b64 v[0:1], 3, v[1:2]
	ds_read_b32 v2, v16
	v_mov_b32_e32 v3, s1
	v_add_co_u32_e32 v0, vcc, s0, v0
	v_addc_co_u32_e32 v1, vcc, v3, v1, vcc
	s_waitcnt lgkmcnt(0)
	v_ashrrev_i32_e32 v3, 31, v2
	global_store_dwordx2 v[0:1], v[2:3], off offset:8
.LBB16_21:
	s_endpgm
	.section	.rodata,"a",@progbits
	.p2align	6, 0x0
	.amdhsa_kernel _ZN9rocsparseL46csr2bsr_nnz_wavefront_per_row_multipass_kernelILj256ELj64ELj16EliEEvT3_S1_S1_S1_S1_21rocsparse_index_base_PKT2_PKS1_S2_PS3_
		.amdhsa_group_segment_fixed_size 20
		.amdhsa_private_segment_fixed_size 0
		.amdhsa_kernarg_size 56
		.amdhsa_user_sgpr_count 6
		.amdhsa_user_sgpr_private_segment_buffer 1
		.amdhsa_user_sgpr_dispatch_ptr 0
		.amdhsa_user_sgpr_queue_ptr 0
		.amdhsa_user_sgpr_kernarg_segment_ptr 1
		.amdhsa_user_sgpr_dispatch_id 0
		.amdhsa_user_sgpr_flat_scratch_init 0
		.amdhsa_user_sgpr_private_segment_size 0
		.amdhsa_uses_dynamic_stack 0
		.amdhsa_system_sgpr_private_segment_wavefront_offset 0
		.amdhsa_system_sgpr_workgroup_id_x 1
		.amdhsa_system_sgpr_workgroup_id_y 0
		.amdhsa_system_sgpr_workgroup_id_z 0
		.amdhsa_system_sgpr_workgroup_info 0
		.amdhsa_system_vgpr_workitem_id 0
		.amdhsa_next_free_vgpr 26
		.amdhsa_next_free_sgpr 22
		.amdhsa_reserve_vcc 1
		.amdhsa_reserve_flat_scratch 0
		.amdhsa_float_round_mode_32 0
		.amdhsa_float_round_mode_16_64 0
		.amdhsa_float_denorm_mode_32 3
		.amdhsa_float_denorm_mode_16_64 3
		.amdhsa_dx10_clamp 1
		.amdhsa_ieee_mode 1
		.amdhsa_fp16_overflow 0
		.amdhsa_exception_fp_ieee_invalid_op 0
		.amdhsa_exception_fp_denorm_src 0
		.amdhsa_exception_fp_ieee_div_zero 0
		.amdhsa_exception_fp_ieee_overflow 0
		.amdhsa_exception_fp_ieee_underflow 0
		.amdhsa_exception_fp_ieee_inexact 0
		.amdhsa_exception_int_div_zero 0
	.end_amdhsa_kernel
	.section	.text._ZN9rocsparseL46csr2bsr_nnz_wavefront_per_row_multipass_kernelILj256ELj64ELj16EliEEvT3_S1_S1_S1_S1_21rocsparse_index_base_PKT2_PKS1_S2_PS3_,"axG",@progbits,_ZN9rocsparseL46csr2bsr_nnz_wavefront_per_row_multipass_kernelILj256ELj64ELj16EliEEvT3_S1_S1_S1_S1_21rocsparse_index_base_PKT2_PKS1_S2_PS3_,comdat
.Lfunc_end16:
	.size	_ZN9rocsparseL46csr2bsr_nnz_wavefront_per_row_multipass_kernelILj256ELj64ELj16EliEEvT3_S1_S1_S1_S1_21rocsparse_index_base_PKT2_PKS1_S2_PS3_, .Lfunc_end16-_ZN9rocsparseL46csr2bsr_nnz_wavefront_per_row_multipass_kernelILj256ELj64ELj16EliEEvT3_S1_S1_S1_S1_21rocsparse_index_base_PKT2_PKS1_S2_PS3_
                                        ; -- End function
	.set _ZN9rocsparseL46csr2bsr_nnz_wavefront_per_row_multipass_kernelILj256ELj64ELj16EliEEvT3_S1_S1_S1_S1_21rocsparse_index_base_PKT2_PKS1_S2_PS3_.num_vgpr, 26
	.set _ZN9rocsparseL46csr2bsr_nnz_wavefront_per_row_multipass_kernelILj256ELj64ELj16EliEEvT3_S1_S1_S1_S1_21rocsparse_index_base_PKT2_PKS1_S2_PS3_.num_agpr, 0
	.set _ZN9rocsparseL46csr2bsr_nnz_wavefront_per_row_multipass_kernelILj256ELj64ELj16EliEEvT3_S1_S1_S1_S1_21rocsparse_index_base_PKT2_PKS1_S2_PS3_.numbered_sgpr, 22
	.set _ZN9rocsparseL46csr2bsr_nnz_wavefront_per_row_multipass_kernelILj256ELj64ELj16EliEEvT3_S1_S1_S1_S1_21rocsparse_index_base_PKT2_PKS1_S2_PS3_.num_named_barrier, 0
	.set _ZN9rocsparseL46csr2bsr_nnz_wavefront_per_row_multipass_kernelILj256ELj64ELj16EliEEvT3_S1_S1_S1_S1_21rocsparse_index_base_PKT2_PKS1_S2_PS3_.private_seg_size, 0
	.set _ZN9rocsparseL46csr2bsr_nnz_wavefront_per_row_multipass_kernelILj256ELj64ELj16EliEEvT3_S1_S1_S1_S1_21rocsparse_index_base_PKT2_PKS1_S2_PS3_.uses_vcc, 1
	.set _ZN9rocsparseL46csr2bsr_nnz_wavefront_per_row_multipass_kernelILj256ELj64ELj16EliEEvT3_S1_S1_S1_S1_21rocsparse_index_base_PKT2_PKS1_S2_PS3_.uses_flat_scratch, 0
	.set _ZN9rocsparseL46csr2bsr_nnz_wavefront_per_row_multipass_kernelILj256ELj64ELj16EliEEvT3_S1_S1_S1_S1_21rocsparse_index_base_PKT2_PKS1_S2_PS3_.has_dyn_sized_stack, 0
	.set _ZN9rocsparseL46csr2bsr_nnz_wavefront_per_row_multipass_kernelILj256ELj64ELj16EliEEvT3_S1_S1_S1_S1_21rocsparse_index_base_PKT2_PKS1_S2_PS3_.has_recursion, 0
	.set _ZN9rocsparseL46csr2bsr_nnz_wavefront_per_row_multipass_kernelILj256ELj64ELj16EliEEvT3_S1_S1_S1_S1_21rocsparse_index_base_PKT2_PKS1_S2_PS3_.has_indirect_call, 0
	.section	.AMDGPU.csdata,"",@progbits
; Kernel info:
; codeLenInByte = 1148
; TotalNumSgprs: 26
; NumVgprs: 26
; ScratchSize: 0
; MemoryBound: 0
; FloatMode: 240
; IeeeMode: 1
; LDSByteSize: 20 bytes/workgroup (compile time only)
; SGPRBlocks: 3
; VGPRBlocks: 6
; NumSGPRsForWavesPerEU: 26
; NumVGPRsForWavesPerEU: 26
; Occupancy: 9
; WaveLimiterHint : 0
; COMPUTE_PGM_RSRC2:SCRATCH_EN: 0
; COMPUTE_PGM_RSRC2:USER_SGPR: 6
; COMPUTE_PGM_RSRC2:TRAP_HANDLER: 0
; COMPUTE_PGM_RSRC2:TGID_X_EN: 1
; COMPUTE_PGM_RSRC2:TGID_Y_EN: 0
; COMPUTE_PGM_RSRC2:TGID_Z_EN: 0
; COMPUTE_PGM_RSRC2:TIDIG_COMP_CNT: 0
	.section	.text._ZN9rocsparseL46csr2bsr_nnz_wavefront_per_row_multipass_kernelILj256ELj32ELj16EliEEvT3_S1_S1_S1_S1_21rocsparse_index_base_PKT2_PKS1_S2_PS3_,"axG",@progbits,_ZN9rocsparseL46csr2bsr_nnz_wavefront_per_row_multipass_kernelILj256ELj32ELj16EliEEvT3_S1_S1_S1_S1_21rocsparse_index_base_PKT2_PKS1_S2_PS3_,comdat
	.globl	_ZN9rocsparseL46csr2bsr_nnz_wavefront_per_row_multipass_kernelILj256ELj32ELj16EliEEvT3_S1_S1_S1_S1_21rocsparse_index_base_PKT2_PKS1_S2_PS3_ ; -- Begin function _ZN9rocsparseL46csr2bsr_nnz_wavefront_per_row_multipass_kernelILj256ELj32ELj16EliEEvT3_S1_S1_S1_S1_21rocsparse_index_base_PKT2_PKS1_S2_PS3_
	.p2align	8
	.type	_ZN9rocsparseL46csr2bsr_nnz_wavefront_per_row_multipass_kernelILj256ELj32ELj16EliEEvT3_S1_S1_S1_S1_21rocsparse_index_base_PKT2_PKS1_S2_PS3_,@function
_ZN9rocsparseL46csr2bsr_nnz_wavefront_per_row_multipass_kernelILj256ELj32ELj16EliEEvT3_S1_S1_S1_S1_21rocsparse_index_base_PKT2_PKS1_S2_PS3_: ; @_ZN9rocsparseL46csr2bsr_nnz_wavefront_per_row_multipass_kernelILj256ELj32ELj16EliEEvT3_S1_S1_S1_S1_21rocsparse_index_base_PKT2_PKS1_S2_PS3_
; %bb.0:
	s_load_dword s7, s[4:5], 0x0
	s_load_dwordx4 s[8:11], s[4:5], 0x8
	s_load_dwordx2 s[2:3], s[4:5], 0x18
	v_lshrrev_b32_e32 v17, 5, v0
	v_bfe_u32 v2, v0, 1, 4
	v_lshl_or_b32 v1, s6, 3, v17
	s_waitcnt lgkmcnt(0)
	v_mad_u64_u32 v[4:5], s[0:1], v1, s10, v[2:3]
	v_lshlrev_b32_e32 v16, 2, v17
	v_mov_b32_e32 v3, 0
	ds_write_b32 v16, v3
	v_cmp_gt_i32_e32 vcc, s7, v4
	v_cmp_gt_i32_e64 s[0:1], s10, v2
	v_mov_b32_e32 v2, 0
	v_mov_b32_e32 v6, 0
	;; [unrolled: 1-line block ×4, first 2 shown]
	s_and_b64 s[0:1], s[0:1], vcc
	s_waitcnt lgkmcnt(0)
	s_barrier
	s_and_saveexec_b64 s[6:7], s[0:1]
	s_cbranch_execz .LBB17_2
; %bb.1:
	v_ashrrev_i32_e32 v5, 31, v4
	v_lshlrev_b64 v[5:6], 3, v[4:5]
	v_mov_b32_e32 v7, s3
	v_add_co_u32_e32 v5, vcc, s2, v5
	v_addc_co_u32_e32 v6, vcc, v7, v6, vcc
	global_load_dwordx2 v[6:7], v[5:6], off
	s_waitcnt vmcnt(0)
	v_subrev_co_u32_e32 v6, vcc, s11, v6
	v_subbrev_co_u32_e32 v7, vcc, 0, v7, vcc
.LBB17_2:
	s_or_b64 exec, exec, s[6:7]
	s_and_saveexec_b64 s[6:7], s[0:1]
	s_cbranch_execz .LBB17_4
; %bb.3:
	v_ashrrev_i32_e32 v5, 31, v4
	v_lshlrev_b64 v[2:3], 3, v[4:5]
	v_mov_b32_e32 v4, s3
	v_add_co_u32_e32 v2, vcc, s2, v2
	v_addc_co_u32_e32 v3, vcc, v4, v3, vcc
	global_load_dwordx2 v[2:3], v[2:3], off offset:8
	s_waitcnt vmcnt(0)
	v_subrev_co_u32_e32 v2, vcc, s11, v2
	v_subbrev_co_u32_e32 v3, vcc, 0, v3, vcc
.LBB17_4:
	s_or_b64 exec, exec, s[6:7]
	v_and_b32_e32 v18, 31, v0
	s_cmp_lt_i32 s9, 1
	v_cmp_eq_u32_e32 vcc, 0, v18
	s_cbranch_scc1 .LBB17_18
; %bb.5:
	s_abs_i32 s18, s10
	v_cvt_f32_u32_e32 v4, s18
	s_sub_i32 s0, 0, s18
	s_load_dwordx2 s[6:7], s[4:5], 0x20
	v_mbcnt_lo_u32_b32 v9, -1, 0
	v_rcp_iflag_f32_e32 v4, v4
	v_mbcnt_hi_u32_b32 v9, -1, v9
	v_lshlrev_b32_e32 v9, 2, v9
	v_and_b32_e32 v0, 1, v0
	v_mul_f32_e32 v4, 0x4f7ffffe, v4
	v_cvt_u32_f32_e32 v8, v4
	v_mov_b32_e32 v4, 0
	v_mov_b32_e32 v19, 0
	s_ashr_i32 s10, s10, 31
	v_mul_lo_u32 v10, s0, v8
	s_mov_b64 s[12:13], 0
	v_mov_b32_e32 v5, 0
	v_or_b32_e32 v20, 4, v9
	v_mul_hi_u32 v10, v8, v10
	v_or_b32_e32 v21, 0x7c, v9
	v_mov_b32_e32 v23, 1
	v_add_u32_e32 v22, v8, v10
	s_branch .LBB17_7
.LBB17_6:                               ;   in Loop: Header=BB17_7 Depth=1
	s_or_b64 exec, exec, s[0:1]
	v_mov_b32_dpp v4, v24 row_shr:1 row_mask:0xf bank_mask:0xf
	v_min_i32_e32 v4, v4, v24
	s_waitcnt lgkmcnt(0)
	s_nop 0
	v_mov_b32_dpp v5, v4 row_shr:2 row_mask:0xf bank_mask:0xf
	v_min_i32_e32 v4, v5, v4
	s_nop 1
	v_mov_b32_dpp v5, v4 row_shr:4 row_mask:0xf bank_mask:0xe
	v_min_i32_e32 v4, v5, v4
	;; [unrolled: 3-line block ×3, first 2 shown]
	s_nop 1
	v_mov_b32_dpp v5, v4 row_bcast:15 row_mask:0xa bank_mask:0xf
	v_min_i32_e32 v4, v5, v4
	ds_bpermute_b32 v4, v21, v4
	s_waitcnt lgkmcnt(0)
	v_cmp_le_i32_e64 s[0:1], s9, v4
	v_ashrrev_i32_e32 v5, 31, v4
	s_or_b64 s[12:13], s[0:1], s[12:13]
	s_andn2_b64 exec, exec, s[12:13]
	s_cbranch_execz .LBB17_17
.LBB17_7:                               ; =>This Loop Header: Depth=1
                                        ;     Child Loop BB17_10 Depth 2
	v_add_co_u32_e64 v6, s[0:1], v6, v0
	v_addc_co_u32_e64 v7, s[0:1], 0, v7, s[0:1]
	v_cmp_lt_i64_e64 s[0:1], v[6:7], v[2:3]
	v_mov_b32_e32 v11, v3
	v_mov_b32_e32 v24, s9
	;; [unrolled: 1-line block ×3, first 2 shown]
	ds_write_b8 v17, v19 offset:32
	s_waitcnt lgkmcnt(0)
	s_and_saveexec_b64 s[14:15], s[0:1]
	s_cbranch_execz .LBB17_15
; %bb.8:                                ;   in Loop: Header=BB17_7 Depth=1
	v_lshlrev_b64 v[8:9], 2, v[6:7]
	v_mov_b32_e32 v10, s7
	v_add_co_u32_e64 v8, s[0:1], s6, v8
	v_addc_co_u32_e64 v9, s[0:1], v10, v9, s[0:1]
	v_mov_b32_e32 v11, v3
	s_mov_b64 s[16:17], 0
	v_mov_b32_e32 v24, s9
	v_mov_b32_e32 v10, v2
	s_branch .LBB17_10
.LBB17_9:                               ;   in Loop: Header=BB17_10 Depth=2
	s_or_b64 exec, exec, s[2:3]
	v_add_co_u32_e64 v6, s[2:3], 2, v6
	v_addc_co_u32_e64 v7, s[2:3], 0, v7, s[2:3]
	v_cmp_ge_i64_e64 s[2:3], v[6:7], v[2:3]
	s_xor_b64 s[0:1], s[0:1], -1
	s_or_b64 s[0:1], s[0:1], s[2:3]
	s_and_b64 s[0:1], exec, s[0:1]
	s_or_b64 s[16:17], s[0:1], s[16:17]
	v_add_co_u32_e64 v8, s[0:1], 8, v8
	v_addc_co_u32_e64 v9, s[0:1], 0, v9, s[0:1]
	s_andn2_b64 exec, exec, s[16:17]
	s_cbranch_execz .LBB17_14
.LBB17_10:                              ;   Parent Loop BB17_7 Depth=1
                                        ; =>  This Inner Loop Header: Depth=2
	global_load_dword v12, v[8:9], off
	s_waitcnt vmcnt(0)
	v_subrev_u32_e32 v12, s11, v12
	v_sub_u32_e32 v13, 0, v12
	v_max_i32_e32 v13, v12, v13
	v_mul_hi_u32 v14, v13, v22
	v_ashrrev_i32_e32 v12, 31, v12
	v_xor_b32_e32 v12, s10, v12
	v_mul_lo_u32 v15, v14, s18
	v_add_u32_e32 v25, 1, v14
	v_sub_u32_e32 v13, v13, v15
	v_cmp_le_u32_e64 s[0:1], s18, v13
	v_subrev_u32_e32 v15, s18, v13
	v_cndmask_b32_e64 v14, v14, v25, s[0:1]
	v_cndmask_b32_e64 v13, v13, v15, s[0:1]
	v_add_u32_e32 v15, 1, v14
	v_cmp_le_u32_e64 s[0:1], s18, v13
	v_cndmask_b32_e64 v13, v14, v15, s[0:1]
	v_xor_b32_e32 v13, v13, v12
	v_sub_u32_e32 v14, v13, v12
	v_ashrrev_i32_e32 v15, 31, v14
	v_cmp_eq_u64_e64 s[0:1], v[4:5], v[14:15]
	v_cmp_ne_u64_e64 s[2:3], v[4:5], v[14:15]
	v_mov_b32_e32 v13, v11
	v_mov_b32_e32 v12, v10
	s_and_saveexec_b64 s[20:21], s[2:3]
	s_xor_b64 s[2:3], exec, s[20:21]
; %bb.11:                               ;   in Loop: Header=BB17_10 Depth=2
	v_min_i32_e32 v24, v14, v24
                                        ; implicit-def: $vgpr12_vgpr13
; %bb.12:                               ;   in Loop: Header=BB17_10 Depth=2
	s_or_saveexec_b64 s[2:3], s[2:3]
	v_mov_b32_e32 v11, v7
	v_mov_b32_e32 v10, v6
	s_xor_b64 exec, exec, s[2:3]
	s_cbranch_execz .LBB17_9
; %bb.13:                               ;   in Loop: Header=BB17_10 Depth=2
	v_mov_b32_e32 v10, v12
	v_mov_b32_e32 v11, v13
	ds_write_b8 v17, v23 offset:32
	s_branch .LBB17_9
.LBB17_14:                              ;   in Loop: Header=BB17_7 Depth=1
	s_or_b64 exec, exec, s[16:17]
.LBB17_15:                              ;   in Loop: Header=BB17_7 Depth=1
	s_or_b64 exec, exec, s[14:15]
	v_mov_b32_dpp v4, v10 row_shr:1 row_mask:0xf bank_mask:0xf
	v_mov_b32_dpp v5, v11 row_shr:1 row_mask:0xf bank_mask:0xf
	s_waitcnt lgkmcnt(0)
	v_cmp_lt_i64_e64 s[0:1], v[4:5], v[10:11]
	ds_read_u8 v8, v17 offset:32
	v_cndmask_b32_e64 v5, v11, v5, s[0:1]
	v_cndmask_b32_e64 v4, v10, v4, s[0:1]
	ds_bpermute_b32 v6, v20, v4
	ds_bpermute_b32 v7, v20, v5
	s_waitcnt lgkmcnt(2)
	v_and_b32_e32 v4, 1, v8
	v_cmp_eq_u32_e64 s[0:1], 1, v4
	s_and_b64 s[2:3], vcc, s[0:1]
	s_and_saveexec_b64 s[0:1], s[2:3]
	s_cbranch_execz .LBB17_6
; %bb.16:                               ;   in Loop: Header=BB17_7 Depth=1
	ds_read_b32 v4, v16
	s_waitcnt lgkmcnt(0)
	v_add_u32_e32 v4, 1, v4
	ds_write_b32 v16, v4
	s_branch .LBB17_6
.LBB17_17:
	s_or_b64 exec, exec, s[12:13]
.LBB17_18:
	v_cmp_eq_u32_e32 vcc, 0, v18
	s_and_saveexec_b64 s[0:1], vcc
	s_cbranch_execz .LBB17_21
; %bb.19:
	s_load_dword s2, s[4:5], 0x28
	s_load_dwordx2 s[0:1], s[4:5], 0x30
	v_mov_b32_e32 v3, 0
	v_cmp_gt_u32_e32 vcc, s8, v1
	s_waitcnt lgkmcnt(0)
	v_mov_b32_e32 v2, s2
	global_store_dwordx2 v3, v[2:3], s[0:1]
	s_and_b64 exec, exec, vcc
	s_cbranch_execz .LBB17_21
; %bb.20:
	v_mov_b32_e32 v2, v3
	v_lshlrev_b64 v[0:1], 3, v[1:2]
	ds_read_b32 v2, v16
	v_mov_b32_e32 v3, s1
	v_add_co_u32_e32 v0, vcc, s0, v0
	v_addc_co_u32_e32 v1, vcc, v3, v1, vcc
	s_waitcnt lgkmcnt(0)
	v_ashrrev_i32_e32 v3, 31, v2
	global_store_dwordx2 v[0:1], v[2:3], off offset:8
.LBB17_21:
	s_endpgm
	.section	.rodata,"a",@progbits
	.p2align	6, 0x0
	.amdhsa_kernel _ZN9rocsparseL46csr2bsr_nnz_wavefront_per_row_multipass_kernelILj256ELj32ELj16EliEEvT3_S1_S1_S1_S1_21rocsparse_index_base_PKT2_PKS1_S2_PS3_
		.amdhsa_group_segment_fixed_size 40
		.amdhsa_private_segment_fixed_size 0
		.amdhsa_kernarg_size 56
		.amdhsa_user_sgpr_count 6
		.amdhsa_user_sgpr_private_segment_buffer 1
		.amdhsa_user_sgpr_dispatch_ptr 0
		.amdhsa_user_sgpr_queue_ptr 0
		.amdhsa_user_sgpr_kernarg_segment_ptr 1
		.amdhsa_user_sgpr_dispatch_id 0
		.amdhsa_user_sgpr_flat_scratch_init 0
		.amdhsa_user_sgpr_private_segment_size 0
		.amdhsa_uses_dynamic_stack 0
		.amdhsa_system_sgpr_private_segment_wavefront_offset 0
		.amdhsa_system_sgpr_workgroup_id_x 1
		.amdhsa_system_sgpr_workgroup_id_y 0
		.amdhsa_system_sgpr_workgroup_id_z 0
		.amdhsa_system_sgpr_workgroup_info 0
		.amdhsa_system_vgpr_workitem_id 0
		.amdhsa_next_free_vgpr 26
		.amdhsa_next_free_sgpr 22
		.amdhsa_reserve_vcc 1
		.amdhsa_reserve_flat_scratch 0
		.amdhsa_float_round_mode_32 0
		.amdhsa_float_round_mode_16_64 0
		.amdhsa_float_denorm_mode_32 3
		.amdhsa_float_denorm_mode_16_64 3
		.amdhsa_dx10_clamp 1
		.amdhsa_ieee_mode 1
		.amdhsa_fp16_overflow 0
		.amdhsa_exception_fp_ieee_invalid_op 0
		.amdhsa_exception_fp_denorm_src 0
		.amdhsa_exception_fp_ieee_div_zero 0
		.amdhsa_exception_fp_ieee_overflow 0
		.amdhsa_exception_fp_ieee_underflow 0
		.amdhsa_exception_fp_ieee_inexact 0
		.amdhsa_exception_int_div_zero 0
	.end_amdhsa_kernel
	.section	.text._ZN9rocsparseL46csr2bsr_nnz_wavefront_per_row_multipass_kernelILj256ELj32ELj16EliEEvT3_S1_S1_S1_S1_21rocsparse_index_base_PKT2_PKS1_S2_PS3_,"axG",@progbits,_ZN9rocsparseL46csr2bsr_nnz_wavefront_per_row_multipass_kernelILj256ELj32ELj16EliEEvT3_S1_S1_S1_S1_21rocsparse_index_base_PKT2_PKS1_S2_PS3_,comdat
.Lfunc_end17:
	.size	_ZN9rocsparseL46csr2bsr_nnz_wavefront_per_row_multipass_kernelILj256ELj32ELj16EliEEvT3_S1_S1_S1_S1_21rocsparse_index_base_PKT2_PKS1_S2_PS3_, .Lfunc_end17-_ZN9rocsparseL46csr2bsr_nnz_wavefront_per_row_multipass_kernelILj256ELj32ELj16EliEEvT3_S1_S1_S1_S1_21rocsparse_index_base_PKT2_PKS1_S2_PS3_
                                        ; -- End function
	.set _ZN9rocsparseL46csr2bsr_nnz_wavefront_per_row_multipass_kernelILj256ELj32ELj16EliEEvT3_S1_S1_S1_S1_21rocsparse_index_base_PKT2_PKS1_S2_PS3_.num_vgpr, 26
	.set _ZN9rocsparseL46csr2bsr_nnz_wavefront_per_row_multipass_kernelILj256ELj32ELj16EliEEvT3_S1_S1_S1_S1_21rocsparse_index_base_PKT2_PKS1_S2_PS3_.num_agpr, 0
	.set _ZN9rocsparseL46csr2bsr_nnz_wavefront_per_row_multipass_kernelILj256ELj32ELj16EliEEvT3_S1_S1_S1_S1_21rocsparse_index_base_PKT2_PKS1_S2_PS3_.numbered_sgpr, 22
	.set _ZN9rocsparseL46csr2bsr_nnz_wavefront_per_row_multipass_kernelILj256ELj32ELj16EliEEvT3_S1_S1_S1_S1_21rocsparse_index_base_PKT2_PKS1_S2_PS3_.num_named_barrier, 0
	.set _ZN9rocsparseL46csr2bsr_nnz_wavefront_per_row_multipass_kernelILj256ELj32ELj16EliEEvT3_S1_S1_S1_S1_21rocsparse_index_base_PKT2_PKS1_S2_PS3_.private_seg_size, 0
	.set _ZN9rocsparseL46csr2bsr_nnz_wavefront_per_row_multipass_kernelILj256ELj32ELj16EliEEvT3_S1_S1_S1_S1_21rocsparse_index_base_PKT2_PKS1_S2_PS3_.uses_vcc, 1
	.set _ZN9rocsparseL46csr2bsr_nnz_wavefront_per_row_multipass_kernelILj256ELj32ELj16EliEEvT3_S1_S1_S1_S1_21rocsparse_index_base_PKT2_PKS1_S2_PS3_.uses_flat_scratch, 0
	.set _ZN9rocsparseL46csr2bsr_nnz_wavefront_per_row_multipass_kernelILj256ELj32ELj16EliEEvT3_S1_S1_S1_S1_21rocsparse_index_base_PKT2_PKS1_S2_PS3_.has_dyn_sized_stack, 0
	.set _ZN9rocsparseL46csr2bsr_nnz_wavefront_per_row_multipass_kernelILj256ELj32ELj16EliEEvT3_S1_S1_S1_S1_21rocsparse_index_base_PKT2_PKS1_S2_PS3_.has_recursion, 0
	.set _ZN9rocsparseL46csr2bsr_nnz_wavefront_per_row_multipass_kernelILj256ELj32ELj16EliEEvT3_S1_S1_S1_S1_21rocsparse_index_base_PKT2_PKS1_S2_PS3_.has_indirect_call, 0
	.section	.AMDGPU.csdata,"",@progbits
; Kernel info:
; codeLenInByte = 1092
; TotalNumSgprs: 26
; NumVgprs: 26
; ScratchSize: 0
; MemoryBound: 0
; FloatMode: 240
; IeeeMode: 1
; LDSByteSize: 40 bytes/workgroup (compile time only)
; SGPRBlocks: 3
; VGPRBlocks: 6
; NumSGPRsForWavesPerEU: 26
; NumVGPRsForWavesPerEU: 26
; Occupancy: 9
; WaveLimiterHint : 0
; COMPUTE_PGM_RSRC2:SCRATCH_EN: 0
; COMPUTE_PGM_RSRC2:USER_SGPR: 6
; COMPUTE_PGM_RSRC2:TRAP_HANDLER: 0
; COMPUTE_PGM_RSRC2:TGID_X_EN: 1
; COMPUTE_PGM_RSRC2:TGID_Y_EN: 0
; COMPUTE_PGM_RSRC2:TGID_Z_EN: 0
; COMPUTE_PGM_RSRC2:TIDIG_COMP_CNT: 0
	.section	.text._ZN9rocsparseL42csr2bsr_nnz_block_per_row_multipass_kernelILj256ELj32EliEEvT2_S1_S1_S1_S1_21rocsparse_index_base_PKT1_PKS1_S2_PS3_,"axG",@progbits,_ZN9rocsparseL42csr2bsr_nnz_block_per_row_multipass_kernelILj256ELj32EliEEvT2_S1_S1_S1_S1_21rocsparse_index_base_PKT1_PKS1_S2_PS3_,comdat
	.globl	_ZN9rocsparseL42csr2bsr_nnz_block_per_row_multipass_kernelILj256ELj32EliEEvT2_S1_S1_S1_S1_21rocsparse_index_base_PKT1_PKS1_S2_PS3_ ; -- Begin function _ZN9rocsparseL42csr2bsr_nnz_block_per_row_multipass_kernelILj256ELj32EliEEvT2_S1_S1_S1_S1_21rocsparse_index_base_PKT1_PKS1_S2_PS3_
	.p2align	8
	.type	_ZN9rocsparseL42csr2bsr_nnz_block_per_row_multipass_kernelILj256ELj32EliEEvT2_S1_S1_S1_S1_21rocsparse_index_base_PKT1_PKS1_S2_PS3_,@function
_ZN9rocsparseL42csr2bsr_nnz_block_per_row_multipass_kernelILj256ELj32EliEEvT2_S1_S1_S1_S1_21rocsparse_index_base_PKT1_PKS1_S2_PS3_: ; @_ZN9rocsparseL42csr2bsr_nnz_block_per_row_multipass_kernelILj256ELj32EliEEvT2_S1_S1_S1_S1_21rocsparse_index_base_PKT1_PKS1_S2_PS3_
; %bb.0:
	s_load_dwordx4 s[24:27], s[4:5], 0xc
	s_load_dword s0, s[4:5], 0x0
	s_load_dwordx2 s[2:3], s[4:5], 0x18
	v_lshrrev_b32_e32 v1, 3, v0
	v_mov_b32_e32 v2, 0
	s_waitcnt lgkmcnt(0)
	s_mul_i32 s1, s25, s6
	v_add_u32_e32 v5, s1, v1
	ds_write_b32 v2, v2 offset:1024
	v_cmp_gt_i32_e32 vcc, s0, v5
	v_cmp_gt_i32_e64 s[0:1], s25, v1
	v_mov_b32_e32 v1, 0
	v_mov_b32_e32 v3, 0
	;; [unrolled: 1-line block ×4, first 2 shown]
	s_and_b64 s[0:1], s[0:1], vcc
	s_waitcnt lgkmcnt(0)
	s_barrier
	s_and_saveexec_b64 s[8:9], s[0:1]
	s_cbranch_execnz .LBB18_3
; %bb.1:
	s_or_b64 exec, exec, s[8:9]
	s_and_saveexec_b64 s[8:9], s[0:1]
	s_cbranch_execnz .LBB18_4
.LBB18_2:
	s_or_b64 exec, exec, s[8:9]
	s_cmp_lt_i32 s24, 1
	v_cmp_eq_u32_e64 s[0:1], 0, v0
	s_cbranch_scc0 .LBB18_5
	s_branch .LBB18_33
.LBB18_3:
	v_ashrrev_i32_e32 v6, 31, v5
	v_lshlrev_b64 v[3:4], 3, v[5:6]
	v_mov_b32_e32 v6, s3
	v_add_co_u32_e32 v3, vcc, s2, v3
	v_addc_co_u32_e32 v4, vcc, v6, v4, vcc
	global_load_dwordx2 v[3:4], v[3:4], off
	s_waitcnt vmcnt(0)
	v_subrev_co_u32_e32 v3, vcc, s26, v3
	v_subbrev_co_u32_e32 v4, vcc, 0, v4, vcc
	s_or_b64 exec, exec, s[8:9]
	s_and_saveexec_b64 s[8:9], s[0:1]
	s_cbranch_execz .LBB18_2
.LBB18_4:
	v_ashrrev_i32_e32 v6, 31, v5
	v_lshlrev_b64 v[1:2], 3, v[5:6]
	v_mov_b32_e32 v5, s3
	v_add_co_u32_e32 v1, vcc, s2, v1
	v_addc_co_u32_e32 v2, vcc, v5, v2, vcc
	global_load_dwordx2 v[1:2], v[1:2], off offset:8
	s_waitcnt vmcnt(0)
	v_subrev_co_u32_e32 v1, vcc, s26, v1
	v_subbrev_co_u32_e32 v2, vcc, 0, v2, vcc
	s_or_b64 exec, exec, s[8:9]
	s_cmp_lt_i32 s24, 1
	v_cmp_eq_u32_e64 s[0:1], 0, v0
	s_cbranch_scc1 .LBB18_33
.LBB18_5:
	s_abs_i32 s7, s25
	v_cvt_f32_u32_e32 v5, s7
	v_mbcnt_lo_u32_b32 v6, -1, 0
	v_mbcnt_hi_u32_b32 v6, -1, v6
	s_sub_i32 s10, 0, s7
	v_rcp_iflag_f32_e32 v5, v5
	v_lshl_or_b32 v17, v6, 2, 28
	s_load_dwordx2 s[22:23], s[4:5], 0x20
	s_movk_i32 s2, 0x80
	v_mul_f32_e32 v5, 0x4f7ffffe, v5
	v_cvt_u32_f32_e32 v5, v5
	v_and_b32_e32 v15, 7, v0
	v_mov_b32_e32 v16, 0
	v_lshlrev_b32_e32 v18, 2, v0
	v_mul_lo_u32 v6, s10, v5
	v_cmp_gt_u32_e64 s[2:3], s2, v0
	v_cmp_gt_u32_e64 s[8:9], 64, v0
	;; [unrolled: 1-line block ×3, first 2 shown]
	v_mul_hi_u32 v6, v5, v6
	v_cmp_gt_u32_e64 s[12:13], 16, v0
	v_cmp_gt_u32_e64 s[14:15], 8, v0
	;; [unrolled: 1-line block ×3, first 2 shown]
	v_add_u32_e32 v19, v5, v6
	v_mov_b32_e32 v5, 0
	v_cmp_gt_u32_e64 s[18:19], 2, v0
	s_ashr_i32 s25, s25, 31
	v_mov_b32_e32 v6, 0
	v_mov_b32_e32 v20, 1
	s_branch .LBB18_7
.LBB18_6:                               ;   in Loop: Header=BB18_7 Depth=1
	s_or_b64 exec, exec, s[20:21]
	s_waitcnt lgkmcnt(0)
	s_barrier
	ds_read_b32 v5, v16
	s_waitcnt lgkmcnt(0)
	s_barrier
	v_cmp_gt_i32_e32 vcc, s24, v5
	v_ashrrev_i32_e32 v6, 31, v5
	s_cbranch_vccz .LBB18_33
.LBB18_7:                               ; =>This Loop Header: Depth=1
                                        ;     Child Loop BB18_10 Depth 2
	v_add_co_u32_e32 v3, vcc, v3, v15
	v_addc_co_u32_e32 v4, vcc, 0, v4, vcc
	v_cmp_lt_i64_e32 vcc, v[3:4], v[1:2]
	v_mov_b32_e32 v10, v2
	v_mov_b32_e32 v21, s24
	;; [unrolled: 1-line block ×3, first 2 shown]
	ds_write_b8 v16, v16 offset:1028
	s_waitcnt lgkmcnt(0)
	s_barrier
	s_and_saveexec_b64 s[28:29], vcc
	s_cbranch_execz .LBB18_15
; %bb.8:                                ;   in Loop: Header=BB18_7 Depth=1
	v_lshlrev_b64 v[7:8], 2, v[3:4]
	v_mov_b32_e32 v9, s23
	v_add_co_u32_e32 v7, vcc, s22, v7
	v_addc_co_u32_e32 v8, vcc, v9, v8, vcc
	v_mov_b32_e32 v10, v2
	s_mov_b64 s[30:31], 0
	v_mov_b32_e32 v21, s24
	v_mov_b32_e32 v9, v1
	s_branch .LBB18_10
.LBB18_9:                               ;   in Loop: Header=BB18_10 Depth=2
	s_or_b64 exec, exec, s[20:21]
	v_add_co_u32_e64 v3, s[20:21], 8, v3
	v_addc_co_u32_e64 v4, s[20:21], 0, v4, s[20:21]
	v_cmp_ge_i64_e64 s[20:21], v[3:4], v[1:2]
	s_xor_b64 s[34:35], vcc, -1
	s_or_b64 s[20:21], s[34:35], s[20:21]
	s_and_b64 s[20:21], exec, s[20:21]
	v_add_co_u32_e32 v7, vcc, 32, v7
	s_or_b64 s[30:31], s[20:21], s[30:31]
	v_addc_co_u32_e32 v8, vcc, 0, v8, vcc
	s_andn2_b64 exec, exec, s[30:31]
	s_cbranch_execz .LBB18_14
.LBB18_10:                              ;   Parent Loop BB18_7 Depth=1
                                        ; =>  This Inner Loop Header: Depth=2
	global_load_dword v11, v[7:8], off
	s_waitcnt vmcnt(0)
	v_subrev_u32_e32 v11, s26, v11
	v_sub_u32_e32 v12, 0, v11
	v_max_i32_e32 v12, v11, v12
	v_mul_hi_u32 v13, v12, v19
	v_ashrrev_i32_e32 v11, 31, v11
	v_xor_b32_e32 v11, s25, v11
	v_mul_lo_u32 v14, v13, s7
	v_add_u32_e32 v22, 1, v13
	v_sub_u32_e32 v12, v12, v14
	v_cmp_le_u32_e32 vcc, s7, v12
	v_subrev_u32_e32 v14, s7, v12
	v_cndmask_b32_e32 v13, v13, v22, vcc
	v_cndmask_b32_e32 v12, v12, v14, vcc
	v_add_u32_e32 v14, 1, v13
	v_cmp_le_u32_e32 vcc, s7, v12
	v_cndmask_b32_e32 v12, v13, v14, vcc
	v_xor_b32_e32 v12, v12, v11
	v_sub_u32_e32 v13, v12, v11
	v_ashrrev_i32_e32 v14, 31, v13
	v_cmp_eq_u64_e32 vcc, v[5:6], v[13:14]
	v_cmp_ne_u64_e64 s[20:21], v[5:6], v[13:14]
	v_mov_b32_e32 v12, v10
	v_mov_b32_e32 v11, v9
	s_and_saveexec_b64 s[34:35], s[20:21]
	s_xor_b64 s[20:21], exec, s[34:35]
; %bb.11:                               ;   in Loop: Header=BB18_10 Depth=2
	v_min_i32_e32 v21, v13, v21
                                        ; implicit-def: $vgpr11_vgpr12
; %bb.12:                               ;   in Loop: Header=BB18_10 Depth=2
	s_or_saveexec_b64 s[20:21], s[20:21]
	v_mov_b32_e32 v10, v4
	v_mov_b32_e32 v9, v3
	s_xor_b64 exec, exec, s[20:21]
	s_cbranch_execz .LBB18_9
; %bb.13:                               ;   in Loop: Header=BB18_10 Depth=2
	v_mov_b32_e32 v9, v11
	v_mov_b32_e32 v10, v12
	ds_write_b8 v16, v20 offset:1028
	s_branch .LBB18_9
.LBB18_14:                              ;   in Loop: Header=BB18_7 Depth=1
	s_or_b64 exec, exec, s[30:31]
.LBB18_15:                              ;   in Loop: Header=BB18_7 Depth=1
	s_or_b64 exec, exec, s[28:29]
	v_mov_b32_dpp v3, v9 row_shr:1 row_mask:0xf bank_mask:0xf
	v_mov_b32_dpp v4, v10 row_shr:1 row_mask:0xf bank_mask:0xf
	v_cmp_lt_i64_e32 vcc, v[3:4], v[9:10]
	s_waitcnt lgkmcnt(0)
	v_cndmask_b32_e32 v4, v10, v4, vcc
	v_cndmask_b32_e32 v3, v9, v3, vcc
	s_barrier
	v_mov_b32_dpp v6, v4 row_shr:2 row_mask:0xf bank_mask:0xf
	v_mov_b32_dpp v5, v3 row_shr:2 row_mask:0xf bank_mask:0xf
	v_cmp_lt_i64_e32 vcc, v[5:6], v[3:4]
	v_cndmask_b32_e32 v4, v4, v6, vcc
	v_cndmask_b32_e32 v3, v3, v5, vcc
	ds_read_u8 v7, v16 offset:1028
	v_mov_b32_dpp v6, v4 row_shr:4 row_mask:0xf bank_mask:0xe
	v_mov_b32_dpp v5, v3 row_shr:4 row_mask:0xf bank_mask:0xe
	v_cmp_lt_i64_e32 vcc, v[5:6], v[3:4]
	v_cndmask_b32_e32 v4, v4, v6, vcc
	v_cndmask_b32_e32 v3, v3, v5, vcc
	ds_bpermute_b32 v3, v17, v3
	ds_bpermute_b32 v4, v17, v4
	s_waitcnt lgkmcnt(2)
	v_readfirstlane_b32 s20, v7
	s_bitcmp1_b32 s20, 0
	s_cselect_b64 s[20:21], -1, 0
	s_and_b64 s[28:29], s[0:1], s[20:21]
	s_and_saveexec_b64 s[20:21], s[28:29]
	s_cbranch_execz .LBB18_17
; %bb.16:                               ;   in Loop: Header=BB18_7 Depth=1
	ds_read_b32 v5, v16 offset:1024
	s_waitcnt lgkmcnt(0)
	v_add_u32_e32 v5, 1, v5
	ds_write_b32 v16, v5 offset:1024
.LBB18_17:                              ;   in Loop: Header=BB18_7 Depth=1
	s_or_b64 exec, exec, s[20:21]
	ds_write_b32 v18, v21
	s_waitcnt lgkmcnt(0)
	s_barrier
	s_and_saveexec_b64 s[20:21], s[2:3]
	s_cbranch_execz .LBB18_19
; %bb.18:                               ;   in Loop: Header=BB18_7 Depth=1
	ds_read2st64_b32 v[5:6], v18 offset1:2
	s_waitcnt lgkmcnt(0)
	v_min_i32_e32 v5, v6, v5
	ds_write_b32 v18, v5
.LBB18_19:                              ;   in Loop: Header=BB18_7 Depth=1
	s_or_b64 exec, exec, s[20:21]
	s_waitcnt lgkmcnt(0)
	s_barrier
	s_and_saveexec_b64 s[20:21], s[8:9]
	s_cbranch_execz .LBB18_21
; %bb.20:                               ;   in Loop: Header=BB18_7 Depth=1
	ds_read2st64_b32 v[5:6], v18 offset1:1
	s_waitcnt lgkmcnt(0)
	v_min_i32_e32 v5, v6, v5
	ds_write_b32 v18, v5
.LBB18_21:                              ;   in Loop: Header=BB18_7 Depth=1
	s_or_b64 exec, exec, s[20:21]
	s_waitcnt lgkmcnt(0)
	s_barrier
	s_and_saveexec_b64 s[20:21], s[10:11]
	s_cbranch_execz .LBB18_23
; %bb.22:                               ;   in Loop: Header=BB18_7 Depth=1
	ds_read2_b32 v[5:6], v18 offset1:32
	s_waitcnt lgkmcnt(0)
	v_min_i32_e32 v5, v6, v5
	ds_write_b32 v18, v5
.LBB18_23:                              ;   in Loop: Header=BB18_7 Depth=1
	s_or_b64 exec, exec, s[20:21]
	s_waitcnt lgkmcnt(0)
	s_barrier
	s_and_saveexec_b64 s[20:21], s[12:13]
	s_cbranch_execz .LBB18_25
; %bb.24:                               ;   in Loop: Header=BB18_7 Depth=1
	ds_read2_b32 v[5:6], v18 offset1:16
	s_waitcnt lgkmcnt(0)
	v_min_i32_e32 v5, v6, v5
	ds_write_b32 v18, v5
.LBB18_25:                              ;   in Loop: Header=BB18_7 Depth=1
	;; [unrolled: 11-line block ×5, first 2 shown]
	s_or_b64 exec, exec, s[20:21]
	s_waitcnt lgkmcnt(0)
	s_barrier
	s_and_saveexec_b64 s[20:21], s[0:1]
	s_cbranch_execz .LBB18_6
; %bb.32:                               ;   in Loop: Header=BB18_7 Depth=1
	ds_read_b64 v[5:6], v16
	s_waitcnt lgkmcnt(0)
	v_min_i32_e32 v5, v6, v5
	ds_write_b32 v16, v5
	s_branch .LBB18_6
.LBB18_33:
	v_cmp_eq_u32_e32 vcc, 0, v0
	s_and_saveexec_b64 s[0:1], vcc
	s_cbranch_execz .LBB18_35
; %bb.34:
	s_load_dword s2, s[4:5], 0x28
	s_load_dwordx2 s[0:1], s[4:5], 0x30
	v_mov_b32_e32 v1, 0
	ds_read_b32 v2, v1 offset:1024
	s_ashr_i32 s7, s6, 31
	s_waitcnt lgkmcnt(0)
	v_mov_b32_e32 v0, s2
	s_lshl_b64 s[2:3], s[6:7], 3
	s_add_u32 s2, s0, s2
	s_addc_u32 s3, s1, s3
	v_ashrrev_i32_e32 v3, 31, v2
	global_store_dwordx2 v1, v[0:1], s[0:1]
	global_store_dwordx2 v1, v[2:3], s[2:3] offset:8
.LBB18_35:
	s_endpgm
	.section	.rodata,"a",@progbits
	.p2align	6, 0x0
	.amdhsa_kernel _ZN9rocsparseL42csr2bsr_nnz_block_per_row_multipass_kernelILj256ELj32EliEEvT2_S1_S1_S1_S1_21rocsparse_index_base_PKT1_PKS1_S2_PS3_
		.amdhsa_group_segment_fixed_size 1032
		.amdhsa_private_segment_fixed_size 0
		.amdhsa_kernarg_size 56
		.amdhsa_user_sgpr_count 6
		.amdhsa_user_sgpr_private_segment_buffer 1
		.amdhsa_user_sgpr_dispatch_ptr 0
		.amdhsa_user_sgpr_queue_ptr 0
		.amdhsa_user_sgpr_kernarg_segment_ptr 1
		.amdhsa_user_sgpr_dispatch_id 0
		.amdhsa_user_sgpr_flat_scratch_init 0
		.amdhsa_user_sgpr_private_segment_size 0
		.amdhsa_uses_dynamic_stack 0
		.amdhsa_system_sgpr_private_segment_wavefront_offset 0
		.amdhsa_system_sgpr_workgroup_id_x 1
		.amdhsa_system_sgpr_workgroup_id_y 0
		.amdhsa_system_sgpr_workgroup_id_z 0
		.amdhsa_system_sgpr_workgroup_info 0
		.amdhsa_system_vgpr_workitem_id 0
		.amdhsa_next_free_vgpr 23
		.amdhsa_next_free_sgpr 36
		.amdhsa_reserve_vcc 1
		.amdhsa_reserve_flat_scratch 0
		.amdhsa_float_round_mode_32 0
		.amdhsa_float_round_mode_16_64 0
		.amdhsa_float_denorm_mode_32 3
		.amdhsa_float_denorm_mode_16_64 3
		.amdhsa_dx10_clamp 1
		.amdhsa_ieee_mode 1
		.amdhsa_fp16_overflow 0
		.amdhsa_exception_fp_ieee_invalid_op 0
		.amdhsa_exception_fp_denorm_src 0
		.amdhsa_exception_fp_ieee_div_zero 0
		.amdhsa_exception_fp_ieee_overflow 0
		.amdhsa_exception_fp_ieee_underflow 0
		.amdhsa_exception_fp_ieee_inexact 0
		.amdhsa_exception_int_div_zero 0
	.end_amdhsa_kernel
	.section	.text._ZN9rocsparseL42csr2bsr_nnz_block_per_row_multipass_kernelILj256ELj32EliEEvT2_S1_S1_S1_S1_21rocsparse_index_base_PKT1_PKS1_S2_PS3_,"axG",@progbits,_ZN9rocsparseL42csr2bsr_nnz_block_per_row_multipass_kernelILj256ELj32EliEEvT2_S1_S1_S1_S1_21rocsparse_index_base_PKT1_PKS1_S2_PS3_,comdat
.Lfunc_end18:
	.size	_ZN9rocsparseL42csr2bsr_nnz_block_per_row_multipass_kernelILj256ELj32EliEEvT2_S1_S1_S1_S1_21rocsparse_index_base_PKT1_PKS1_S2_PS3_, .Lfunc_end18-_ZN9rocsparseL42csr2bsr_nnz_block_per_row_multipass_kernelILj256ELj32EliEEvT2_S1_S1_S1_S1_21rocsparse_index_base_PKT1_PKS1_S2_PS3_
                                        ; -- End function
	.set _ZN9rocsparseL42csr2bsr_nnz_block_per_row_multipass_kernelILj256ELj32EliEEvT2_S1_S1_S1_S1_21rocsparse_index_base_PKT1_PKS1_S2_PS3_.num_vgpr, 23
	.set _ZN9rocsparseL42csr2bsr_nnz_block_per_row_multipass_kernelILj256ELj32EliEEvT2_S1_S1_S1_S1_21rocsparse_index_base_PKT1_PKS1_S2_PS3_.num_agpr, 0
	.set _ZN9rocsparseL42csr2bsr_nnz_block_per_row_multipass_kernelILj256ELj32EliEEvT2_S1_S1_S1_S1_21rocsparse_index_base_PKT1_PKS1_S2_PS3_.numbered_sgpr, 36
	.set _ZN9rocsparseL42csr2bsr_nnz_block_per_row_multipass_kernelILj256ELj32EliEEvT2_S1_S1_S1_S1_21rocsparse_index_base_PKT1_PKS1_S2_PS3_.num_named_barrier, 0
	.set _ZN9rocsparseL42csr2bsr_nnz_block_per_row_multipass_kernelILj256ELj32EliEEvT2_S1_S1_S1_S1_21rocsparse_index_base_PKT1_PKS1_S2_PS3_.private_seg_size, 0
	.set _ZN9rocsparseL42csr2bsr_nnz_block_per_row_multipass_kernelILj256ELj32EliEEvT2_S1_S1_S1_S1_21rocsparse_index_base_PKT1_PKS1_S2_PS3_.uses_vcc, 1
	.set _ZN9rocsparseL42csr2bsr_nnz_block_per_row_multipass_kernelILj256ELj32EliEEvT2_S1_S1_S1_S1_21rocsparse_index_base_PKT1_PKS1_S2_PS3_.uses_flat_scratch, 0
	.set _ZN9rocsparseL42csr2bsr_nnz_block_per_row_multipass_kernelILj256ELj32EliEEvT2_S1_S1_S1_S1_21rocsparse_index_base_PKT1_PKS1_S2_PS3_.has_dyn_sized_stack, 0
	.set _ZN9rocsparseL42csr2bsr_nnz_block_per_row_multipass_kernelILj256ELj32EliEEvT2_S1_S1_S1_S1_21rocsparse_index_base_PKT1_PKS1_S2_PS3_.has_recursion, 0
	.set _ZN9rocsparseL42csr2bsr_nnz_block_per_row_multipass_kernelILj256ELj32EliEEvT2_S1_S1_S1_S1_21rocsparse_index_base_PKT1_PKS1_S2_PS3_.has_indirect_call, 0
	.section	.AMDGPU.csdata,"",@progbits
; Kernel info:
; codeLenInByte = 1412
; TotalNumSgprs: 40
; NumVgprs: 23
; ScratchSize: 0
; MemoryBound: 0
; FloatMode: 240
; IeeeMode: 1
; LDSByteSize: 1032 bytes/workgroup (compile time only)
; SGPRBlocks: 4
; VGPRBlocks: 5
; NumSGPRsForWavesPerEU: 40
; NumVGPRsForWavesPerEU: 23
; Occupancy: 10
; WaveLimiterHint : 0
; COMPUTE_PGM_RSRC2:SCRATCH_EN: 0
; COMPUTE_PGM_RSRC2:USER_SGPR: 6
; COMPUTE_PGM_RSRC2:TRAP_HANDLER: 0
; COMPUTE_PGM_RSRC2:TGID_X_EN: 1
; COMPUTE_PGM_RSRC2:TGID_Y_EN: 0
; COMPUTE_PGM_RSRC2:TGID_Z_EN: 0
; COMPUTE_PGM_RSRC2:TIDIG_COMP_CNT: 0
	.section	.text._ZN9rocsparseL42csr2bsr_nnz_block_per_row_multipass_kernelILj256ELj64EliEEvT2_S1_S1_S1_S1_21rocsparse_index_base_PKT1_PKS1_S2_PS3_,"axG",@progbits,_ZN9rocsparseL42csr2bsr_nnz_block_per_row_multipass_kernelILj256ELj64EliEEvT2_S1_S1_S1_S1_21rocsparse_index_base_PKT1_PKS1_S2_PS3_,comdat
	.globl	_ZN9rocsparseL42csr2bsr_nnz_block_per_row_multipass_kernelILj256ELj64EliEEvT2_S1_S1_S1_S1_21rocsparse_index_base_PKT1_PKS1_S2_PS3_ ; -- Begin function _ZN9rocsparseL42csr2bsr_nnz_block_per_row_multipass_kernelILj256ELj64EliEEvT2_S1_S1_S1_S1_21rocsparse_index_base_PKT1_PKS1_S2_PS3_
	.p2align	8
	.type	_ZN9rocsparseL42csr2bsr_nnz_block_per_row_multipass_kernelILj256ELj64EliEEvT2_S1_S1_S1_S1_21rocsparse_index_base_PKT1_PKS1_S2_PS3_,@function
_ZN9rocsparseL42csr2bsr_nnz_block_per_row_multipass_kernelILj256ELj64EliEEvT2_S1_S1_S1_S1_21rocsparse_index_base_PKT1_PKS1_S2_PS3_: ; @_ZN9rocsparseL42csr2bsr_nnz_block_per_row_multipass_kernelILj256ELj64EliEEvT2_S1_S1_S1_S1_21rocsparse_index_base_PKT1_PKS1_S2_PS3_
; %bb.0:
	s_load_dwordx4 s[24:27], s[4:5], 0xc
	s_load_dword s0, s[4:5], 0x0
	s_load_dwordx2 s[2:3], s[4:5], 0x18
	v_lshrrev_b32_e32 v1, 2, v0
	v_mov_b32_e32 v2, 0
	s_waitcnt lgkmcnt(0)
	s_mul_i32 s1, s25, s6
	v_add_u32_e32 v5, s1, v1
	ds_write_b32 v2, v2 offset:1024
	v_cmp_gt_i32_e32 vcc, s0, v5
	v_cmp_gt_i32_e64 s[0:1], s25, v1
	v_mov_b32_e32 v1, 0
	v_mov_b32_e32 v3, 0
	;; [unrolled: 1-line block ×4, first 2 shown]
	s_and_b64 s[0:1], s[0:1], vcc
	s_waitcnt lgkmcnt(0)
	s_barrier
	s_and_saveexec_b64 s[8:9], s[0:1]
	s_cbranch_execnz .LBB19_3
; %bb.1:
	s_or_b64 exec, exec, s[8:9]
	s_and_saveexec_b64 s[8:9], s[0:1]
	s_cbranch_execnz .LBB19_4
.LBB19_2:
	s_or_b64 exec, exec, s[8:9]
	s_cmp_lt_i32 s24, 1
	v_cmp_eq_u32_e64 s[0:1], 0, v0
	s_cbranch_scc0 .LBB19_5
	s_branch .LBB19_33
.LBB19_3:
	v_ashrrev_i32_e32 v6, 31, v5
	v_lshlrev_b64 v[3:4], 3, v[5:6]
	v_mov_b32_e32 v6, s3
	v_add_co_u32_e32 v3, vcc, s2, v3
	v_addc_co_u32_e32 v4, vcc, v6, v4, vcc
	global_load_dwordx2 v[3:4], v[3:4], off
	s_waitcnt vmcnt(0)
	v_subrev_co_u32_e32 v3, vcc, s26, v3
	v_subbrev_co_u32_e32 v4, vcc, 0, v4, vcc
	s_or_b64 exec, exec, s[8:9]
	s_and_saveexec_b64 s[8:9], s[0:1]
	s_cbranch_execz .LBB19_2
.LBB19_4:
	v_ashrrev_i32_e32 v6, 31, v5
	v_lshlrev_b64 v[1:2], 3, v[5:6]
	v_mov_b32_e32 v5, s3
	v_add_co_u32_e32 v1, vcc, s2, v1
	v_addc_co_u32_e32 v2, vcc, v5, v2, vcc
	global_load_dwordx2 v[1:2], v[1:2], off offset:8
	s_waitcnt vmcnt(0)
	v_subrev_co_u32_e32 v1, vcc, s26, v1
	v_subbrev_co_u32_e32 v2, vcc, 0, v2, vcc
	s_or_b64 exec, exec, s[8:9]
	s_cmp_lt_i32 s24, 1
	v_cmp_eq_u32_e64 s[0:1], 0, v0
	s_cbranch_scc1 .LBB19_33
.LBB19_5:
	s_abs_i32 s7, s25
	v_cvt_f32_u32_e32 v5, s7
	v_mbcnt_lo_u32_b32 v6, -1, 0
	v_mbcnt_hi_u32_b32 v6, -1, v6
	s_sub_i32 s10, 0, s7
	v_rcp_iflag_f32_e32 v5, v5
	v_lshl_or_b32 v17, v6, 2, 12
	s_load_dwordx2 s[22:23], s[4:5], 0x20
	s_movk_i32 s2, 0x80
	v_mul_f32_e32 v5, 0x4f7ffffe, v5
	v_cvt_u32_f32_e32 v5, v5
	v_and_b32_e32 v15, 3, v0
	v_mov_b32_e32 v16, 0
	v_lshlrev_b32_e32 v18, 2, v0
	v_mul_lo_u32 v6, s10, v5
	v_cmp_gt_u32_e64 s[2:3], s2, v0
	v_cmp_gt_u32_e64 s[8:9], 64, v0
	;; [unrolled: 1-line block ×3, first 2 shown]
	v_mul_hi_u32 v6, v5, v6
	v_cmp_gt_u32_e64 s[12:13], 16, v0
	v_cmp_gt_u32_e64 s[14:15], 8, v0
	;; [unrolled: 1-line block ×3, first 2 shown]
	v_add_u32_e32 v19, v5, v6
	v_mov_b32_e32 v5, 0
	v_cmp_gt_u32_e64 s[18:19], 2, v0
	s_ashr_i32 s25, s25, 31
	v_mov_b32_e32 v6, 0
	v_mov_b32_e32 v20, 1
	s_branch .LBB19_7
.LBB19_6:                               ;   in Loop: Header=BB19_7 Depth=1
	s_or_b64 exec, exec, s[20:21]
	s_waitcnt lgkmcnt(0)
	s_barrier
	ds_read_b32 v5, v16
	s_waitcnt lgkmcnt(0)
	s_barrier
	v_cmp_gt_i32_e32 vcc, s24, v5
	v_ashrrev_i32_e32 v6, 31, v5
	s_cbranch_vccz .LBB19_33
.LBB19_7:                               ; =>This Loop Header: Depth=1
                                        ;     Child Loop BB19_10 Depth 2
	v_add_co_u32_e32 v3, vcc, v3, v15
	v_addc_co_u32_e32 v4, vcc, 0, v4, vcc
	v_cmp_lt_i64_e32 vcc, v[3:4], v[1:2]
	v_mov_b32_e32 v10, v2
	v_mov_b32_e32 v21, s24
	;; [unrolled: 1-line block ×3, first 2 shown]
	ds_write_b8 v16, v16 offset:1028
	s_waitcnt lgkmcnt(0)
	s_barrier
	s_and_saveexec_b64 s[28:29], vcc
	s_cbranch_execz .LBB19_15
; %bb.8:                                ;   in Loop: Header=BB19_7 Depth=1
	v_lshlrev_b64 v[7:8], 2, v[3:4]
	v_mov_b32_e32 v9, s23
	v_add_co_u32_e32 v7, vcc, s22, v7
	v_addc_co_u32_e32 v8, vcc, v9, v8, vcc
	v_mov_b32_e32 v10, v2
	s_mov_b64 s[30:31], 0
	v_mov_b32_e32 v21, s24
	v_mov_b32_e32 v9, v1
	s_branch .LBB19_10
.LBB19_9:                               ;   in Loop: Header=BB19_10 Depth=2
	s_or_b64 exec, exec, s[20:21]
	v_add_co_u32_e64 v3, s[20:21], 4, v3
	v_addc_co_u32_e64 v4, s[20:21], 0, v4, s[20:21]
	v_cmp_ge_i64_e64 s[20:21], v[3:4], v[1:2]
	s_xor_b64 s[34:35], vcc, -1
	s_or_b64 s[20:21], s[34:35], s[20:21]
	s_and_b64 s[20:21], exec, s[20:21]
	v_add_co_u32_e32 v7, vcc, 16, v7
	s_or_b64 s[30:31], s[20:21], s[30:31]
	v_addc_co_u32_e32 v8, vcc, 0, v8, vcc
	s_andn2_b64 exec, exec, s[30:31]
	s_cbranch_execz .LBB19_14
.LBB19_10:                              ;   Parent Loop BB19_7 Depth=1
                                        ; =>  This Inner Loop Header: Depth=2
	global_load_dword v11, v[7:8], off
	s_waitcnt vmcnt(0)
	v_subrev_u32_e32 v11, s26, v11
	v_sub_u32_e32 v12, 0, v11
	v_max_i32_e32 v12, v11, v12
	v_mul_hi_u32 v13, v12, v19
	v_ashrrev_i32_e32 v11, 31, v11
	v_xor_b32_e32 v11, s25, v11
	v_mul_lo_u32 v14, v13, s7
	v_add_u32_e32 v22, 1, v13
	v_sub_u32_e32 v12, v12, v14
	v_cmp_le_u32_e32 vcc, s7, v12
	v_subrev_u32_e32 v14, s7, v12
	v_cndmask_b32_e32 v13, v13, v22, vcc
	v_cndmask_b32_e32 v12, v12, v14, vcc
	v_add_u32_e32 v14, 1, v13
	v_cmp_le_u32_e32 vcc, s7, v12
	v_cndmask_b32_e32 v12, v13, v14, vcc
	v_xor_b32_e32 v12, v12, v11
	v_sub_u32_e32 v13, v12, v11
	v_ashrrev_i32_e32 v14, 31, v13
	v_cmp_eq_u64_e32 vcc, v[5:6], v[13:14]
	v_cmp_ne_u64_e64 s[20:21], v[5:6], v[13:14]
	v_mov_b32_e32 v12, v10
	v_mov_b32_e32 v11, v9
	s_and_saveexec_b64 s[34:35], s[20:21]
	s_xor_b64 s[20:21], exec, s[34:35]
; %bb.11:                               ;   in Loop: Header=BB19_10 Depth=2
	v_min_i32_e32 v21, v13, v21
                                        ; implicit-def: $vgpr11_vgpr12
; %bb.12:                               ;   in Loop: Header=BB19_10 Depth=2
	s_or_saveexec_b64 s[20:21], s[20:21]
	v_mov_b32_e32 v10, v4
	v_mov_b32_e32 v9, v3
	s_xor_b64 exec, exec, s[20:21]
	s_cbranch_execz .LBB19_9
; %bb.13:                               ;   in Loop: Header=BB19_10 Depth=2
	v_mov_b32_e32 v9, v11
	v_mov_b32_e32 v10, v12
	ds_write_b8 v16, v20 offset:1028
	s_branch .LBB19_9
.LBB19_14:                              ;   in Loop: Header=BB19_7 Depth=1
	s_or_b64 exec, exec, s[30:31]
.LBB19_15:                              ;   in Loop: Header=BB19_7 Depth=1
	s_or_b64 exec, exec, s[28:29]
	v_mov_b32_dpp v3, v9 row_shr:1 row_mask:0xf bank_mask:0xf
	v_mov_b32_dpp v4, v10 row_shr:1 row_mask:0xf bank_mask:0xf
	v_cmp_lt_i64_e32 vcc, v[3:4], v[9:10]
	s_waitcnt lgkmcnt(0)
	v_cndmask_b32_e32 v4, v10, v4, vcc
	v_cndmask_b32_e32 v3, v9, v3, vcc
	s_barrier
	s_nop 0
	v_mov_b32_dpp v5, v3 row_shr:2 row_mask:0xf bank_mask:0xf
	v_mov_b32_dpp v6, v4 row_shr:2 row_mask:0xf bank_mask:0xf
	ds_read_u8 v7, v16 offset:1028
	v_cmp_lt_i64_e32 vcc, v[5:6], v[3:4]
	v_cndmask_b32_e32 v4, v4, v6, vcc
	v_cndmask_b32_e32 v3, v3, v5, vcc
	ds_bpermute_b32 v3, v17, v3
	ds_bpermute_b32 v4, v17, v4
	s_waitcnt lgkmcnt(2)
	v_readfirstlane_b32 s20, v7
	s_bitcmp1_b32 s20, 0
	s_cselect_b64 s[20:21], -1, 0
	s_and_b64 s[28:29], s[0:1], s[20:21]
	s_and_saveexec_b64 s[20:21], s[28:29]
	s_cbranch_execz .LBB19_17
; %bb.16:                               ;   in Loop: Header=BB19_7 Depth=1
	ds_read_b32 v5, v16 offset:1024
	s_waitcnt lgkmcnt(0)
	v_add_u32_e32 v5, 1, v5
	ds_write_b32 v16, v5 offset:1024
.LBB19_17:                              ;   in Loop: Header=BB19_7 Depth=1
	s_or_b64 exec, exec, s[20:21]
	ds_write_b32 v18, v21
	s_waitcnt lgkmcnt(0)
	s_barrier
	s_and_saveexec_b64 s[20:21], s[2:3]
	s_cbranch_execz .LBB19_19
; %bb.18:                               ;   in Loop: Header=BB19_7 Depth=1
	ds_read2st64_b32 v[5:6], v18 offset1:2
	s_waitcnt lgkmcnt(0)
	v_min_i32_e32 v5, v6, v5
	ds_write_b32 v18, v5
.LBB19_19:                              ;   in Loop: Header=BB19_7 Depth=1
	s_or_b64 exec, exec, s[20:21]
	s_waitcnt lgkmcnt(0)
	s_barrier
	s_and_saveexec_b64 s[20:21], s[8:9]
	s_cbranch_execz .LBB19_21
; %bb.20:                               ;   in Loop: Header=BB19_7 Depth=1
	ds_read2st64_b32 v[5:6], v18 offset1:1
	s_waitcnt lgkmcnt(0)
	v_min_i32_e32 v5, v6, v5
	ds_write_b32 v18, v5
.LBB19_21:                              ;   in Loop: Header=BB19_7 Depth=1
	s_or_b64 exec, exec, s[20:21]
	s_waitcnt lgkmcnt(0)
	s_barrier
	s_and_saveexec_b64 s[20:21], s[10:11]
	s_cbranch_execz .LBB19_23
; %bb.22:                               ;   in Loop: Header=BB19_7 Depth=1
	ds_read2_b32 v[5:6], v18 offset1:32
	s_waitcnt lgkmcnt(0)
	v_min_i32_e32 v5, v6, v5
	ds_write_b32 v18, v5
.LBB19_23:                              ;   in Loop: Header=BB19_7 Depth=1
	s_or_b64 exec, exec, s[20:21]
	s_waitcnt lgkmcnt(0)
	s_barrier
	s_and_saveexec_b64 s[20:21], s[12:13]
	s_cbranch_execz .LBB19_25
; %bb.24:                               ;   in Loop: Header=BB19_7 Depth=1
	ds_read2_b32 v[5:6], v18 offset1:16
	s_waitcnt lgkmcnt(0)
	v_min_i32_e32 v5, v6, v5
	ds_write_b32 v18, v5
.LBB19_25:                              ;   in Loop: Header=BB19_7 Depth=1
	;; [unrolled: 11-line block ×5, first 2 shown]
	s_or_b64 exec, exec, s[20:21]
	s_waitcnt lgkmcnt(0)
	s_barrier
	s_and_saveexec_b64 s[20:21], s[0:1]
	s_cbranch_execz .LBB19_6
; %bb.32:                               ;   in Loop: Header=BB19_7 Depth=1
	ds_read_b64 v[5:6], v16
	s_waitcnt lgkmcnt(0)
	v_min_i32_e32 v5, v6, v5
	ds_write_b32 v16, v5
	s_branch .LBB19_6
.LBB19_33:
	v_cmp_eq_u32_e32 vcc, 0, v0
	s_and_saveexec_b64 s[0:1], vcc
	s_cbranch_execz .LBB19_35
; %bb.34:
	s_load_dword s2, s[4:5], 0x28
	s_load_dwordx2 s[0:1], s[4:5], 0x30
	v_mov_b32_e32 v1, 0
	ds_read_b32 v2, v1 offset:1024
	s_ashr_i32 s7, s6, 31
	s_waitcnt lgkmcnt(0)
	v_mov_b32_e32 v0, s2
	s_lshl_b64 s[2:3], s[6:7], 3
	s_add_u32 s2, s0, s2
	s_addc_u32 s3, s1, s3
	v_ashrrev_i32_e32 v3, 31, v2
	global_store_dwordx2 v1, v[0:1], s[0:1]
	global_store_dwordx2 v1, v[2:3], s[2:3] offset:8
.LBB19_35:
	s_endpgm
	.section	.rodata,"a",@progbits
	.p2align	6, 0x0
	.amdhsa_kernel _ZN9rocsparseL42csr2bsr_nnz_block_per_row_multipass_kernelILj256ELj64EliEEvT2_S1_S1_S1_S1_21rocsparse_index_base_PKT1_PKS1_S2_PS3_
		.amdhsa_group_segment_fixed_size 1032
		.amdhsa_private_segment_fixed_size 0
		.amdhsa_kernarg_size 56
		.amdhsa_user_sgpr_count 6
		.amdhsa_user_sgpr_private_segment_buffer 1
		.amdhsa_user_sgpr_dispatch_ptr 0
		.amdhsa_user_sgpr_queue_ptr 0
		.amdhsa_user_sgpr_kernarg_segment_ptr 1
		.amdhsa_user_sgpr_dispatch_id 0
		.amdhsa_user_sgpr_flat_scratch_init 0
		.amdhsa_user_sgpr_private_segment_size 0
		.amdhsa_uses_dynamic_stack 0
		.amdhsa_system_sgpr_private_segment_wavefront_offset 0
		.amdhsa_system_sgpr_workgroup_id_x 1
		.amdhsa_system_sgpr_workgroup_id_y 0
		.amdhsa_system_sgpr_workgroup_id_z 0
		.amdhsa_system_sgpr_workgroup_info 0
		.amdhsa_system_vgpr_workitem_id 0
		.amdhsa_next_free_vgpr 23
		.amdhsa_next_free_sgpr 36
		.amdhsa_reserve_vcc 1
		.amdhsa_reserve_flat_scratch 0
		.amdhsa_float_round_mode_32 0
		.amdhsa_float_round_mode_16_64 0
		.amdhsa_float_denorm_mode_32 3
		.amdhsa_float_denorm_mode_16_64 3
		.amdhsa_dx10_clamp 1
		.amdhsa_ieee_mode 1
		.amdhsa_fp16_overflow 0
		.amdhsa_exception_fp_ieee_invalid_op 0
		.amdhsa_exception_fp_denorm_src 0
		.amdhsa_exception_fp_ieee_div_zero 0
		.amdhsa_exception_fp_ieee_overflow 0
		.amdhsa_exception_fp_ieee_underflow 0
		.amdhsa_exception_fp_ieee_inexact 0
		.amdhsa_exception_int_div_zero 0
	.end_amdhsa_kernel
	.section	.text._ZN9rocsparseL42csr2bsr_nnz_block_per_row_multipass_kernelILj256ELj64EliEEvT2_S1_S1_S1_S1_21rocsparse_index_base_PKT1_PKS1_S2_PS3_,"axG",@progbits,_ZN9rocsparseL42csr2bsr_nnz_block_per_row_multipass_kernelILj256ELj64EliEEvT2_S1_S1_S1_S1_21rocsparse_index_base_PKT1_PKS1_S2_PS3_,comdat
.Lfunc_end19:
	.size	_ZN9rocsparseL42csr2bsr_nnz_block_per_row_multipass_kernelILj256ELj64EliEEvT2_S1_S1_S1_S1_21rocsparse_index_base_PKT1_PKS1_S2_PS3_, .Lfunc_end19-_ZN9rocsparseL42csr2bsr_nnz_block_per_row_multipass_kernelILj256ELj64EliEEvT2_S1_S1_S1_S1_21rocsparse_index_base_PKT1_PKS1_S2_PS3_
                                        ; -- End function
	.set _ZN9rocsparseL42csr2bsr_nnz_block_per_row_multipass_kernelILj256ELj64EliEEvT2_S1_S1_S1_S1_21rocsparse_index_base_PKT1_PKS1_S2_PS3_.num_vgpr, 23
	.set _ZN9rocsparseL42csr2bsr_nnz_block_per_row_multipass_kernelILj256ELj64EliEEvT2_S1_S1_S1_S1_21rocsparse_index_base_PKT1_PKS1_S2_PS3_.num_agpr, 0
	.set _ZN9rocsparseL42csr2bsr_nnz_block_per_row_multipass_kernelILj256ELj64EliEEvT2_S1_S1_S1_S1_21rocsparse_index_base_PKT1_PKS1_S2_PS3_.numbered_sgpr, 36
	.set _ZN9rocsparseL42csr2bsr_nnz_block_per_row_multipass_kernelILj256ELj64EliEEvT2_S1_S1_S1_S1_21rocsparse_index_base_PKT1_PKS1_S2_PS3_.num_named_barrier, 0
	.set _ZN9rocsparseL42csr2bsr_nnz_block_per_row_multipass_kernelILj256ELj64EliEEvT2_S1_S1_S1_S1_21rocsparse_index_base_PKT1_PKS1_S2_PS3_.private_seg_size, 0
	.set _ZN9rocsparseL42csr2bsr_nnz_block_per_row_multipass_kernelILj256ELj64EliEEvT2_S1_S1_S1_S1_21rocsparse_index_base_PKT1_PKS1_S2_PS3_.uses_vcc, 1
	.set _ZN9rocsparseL42csr2bsr_nnz_block_per_row_multipass_kernelILj256ELj64EliEEvT2_S1_S1_S1_S1_21rocsparse_index_base_PKT1_PKS1_S2_PS3_.uses_flat_scratch, 0
	.set _ZN9rocsparseL42csr2bsr_nnz_block_per_row_multipass_kernelILj256ELj64EliEEvT2_S1_S1_S1_S1_21rocsparse_index_base_PKT1_PKS1_S2_PS3_.has_dyn_sized_stack, 0
	.set _ZN9rocsparseL42csr2bsr_nnz_block_per_row_multipass_kernelILj256ELj64EliEEvT2_S1_S1_S1_S1_21rocsparse_index_base_PKT1_PKS1_S2_PS3_.has_recursion, 0
	.set _ZN9rocsparseL42csr2bsr_nnz_block_per_row_multipass_kernelILj256ELj64EliEEvT2_S1_S1_S1_S1_21rocsparse_index_base_PKT1_PKS1_S2_PS3_.has_indirect_call, 0
	.section	.AMDGPU.csdata,"",@progbits
; Kernel info:
; codeLenInByte = 1388
; TotalNumSgprs: 40
; NumVgprs: 23
; ScratchSize: 0
; MemoryBound: 0
; FloatMode: 240
; IeeeMode: 1
; LDSByteSize: 1032 bytes/workgroup (compile time only)
; SGPRBlocks: 4
; VGPRBlocks: 5
; NumSGPRsForWavesPerEU: 40
; NumVGPRsForWavesPerEU: 23
; Occupancy: 10
; WaveLimiterHint : 0
; COMPUTE_PGM_RSRC2:SCRATCH_EN: 0
; COMPUTE_PGM_RSRC2:USER_SGPR: 6
; COMPUTE_PGM_RSRC2:TRAP_HANDLER: 0
; COMPUTE_PGM_RSRC2:TGID_X_EN: 1
; COMPUTE_PGM_RSRC2:TGID_Y_EN: 0
; COMPUTE_PGM_RSRC2:TGID_Z_EN: 0
; COMPUTE_PGM_RSRC2:TIDIG_COMP_CNT: 0
	.section	.text._ZN9rocsparseL25csr2bsr_nnz_65_inf_kernelILj32EliEEvT1_S1_S1_S1_S1_S1_21rocsparse_index_base_PKT0_PKS1_S2_PS3_S8_,"axG",@progbits,_ZN9rocsparseL25csr2bsr_nnz_65_inf_kernelILj32EliEEvT1_S1_S1_S1_S1_S1_21rocsparse_index_base_PKT0_PKS1_S2_PS3_S8_,comdat
	.globl	_ZN9rocsparseL25csr2bsr_nnz_65_inf_kernelILj32EliEEvT1_S1_S1_S1_S1_S1_21rocsparse_index_base_PKT0_PKS1_S2_PS3_S8_ ; -- Begin function _ZN9rocsparseL25csr2bsr_nnz_65_inf_kernelILj32EliEEvT1_S1_S1_S1_S1_S1_21rocsparse_index_base_PKT0_PKS1_S2_PS3_S8_
	.p2align	8
	.type	_ZN9rocsparseL25csr2bsr_nnz_65_inf_kernelILj32EliEEvT1_S1_S1_S1_S1_S1_21rocsparse_index_base_PKT0_PKS1_S2_PS3_S8_,@function
_ZN9rocsparseL25csr2bsr_nnz_65_inf_kernelILj32EliEEvT1_S1_S1_S1_S1_S1_21rocsparse_index_base_PKT0_PKS1_S2_PS3_S8_: ; @_ZN9rocsparseL25csr2bsr_nnz_65_inf_kernelILj32EliEEvT1_S1_S1_S1_S1_S1_21rocsparse_index_base_PKT0_PKS1_S2_PS3_S8_
; %bb.0:
	s_load_dwordx4 s[8:11], s[4:5], 0x8
	s_load_dword s7, s[4:5], 0x18
	s_load_dwordx2 s[0:1], s[4:5], 0x40
	s_mov_b32 s15, 0
	s_waitcnt lgkmcnt(0)
	v_mul_lo_u32 v1, s11, v0
	s_mul_i32 s2, s6, s11
	s_lshl_b32 s14, s2, 6
	s_lshl_b64 s[2:3], s[14:15], 3
	v_ashrrev_i32_e32 v2, 31, v1
	s_add_u32 s18, s0, s2
	v_lshlrev_b64 v[3:4], 3, v[1:2]
	s_addc_u32 s19, s1, s3
	s_lshl_b32 s14, s11, 5
	v_mov_b32_e32 v2, s19
	s_cmp_gt_i32 s11, 0
	v_add_co_u32_e32 v1, vcc, s18, v3
	s_cselect_b64 s[2:3], -1, 0
	s_cmp_lt_i32 s11, 1
	v_addc_co_u32_e32 v2, vcc, v2, v4, vcc
	s_cbranch_scc1 .LBB20_5
; %bb.1:
	s_load_dwordx2 s[12:13], s[4:5], 0x20
	s_load_dword s20, s[4:5], 0x0
	s_mov_b32 s1, s15
	s_lshl_b64 s[16:17], s[14:15], 3
	s_mov_b32 s0, s15
	v_mov_b32_e32 v6, s1
	v_mov_b32_e32 v8, v2
	s_mul_i32 s21, s10, s6
	v_mov_b32_e32 v5, s0
	v_mov_b32_e32 v13, s17
	;; [unrolled: 1-line block ×4, first 2 shown]
	s_mov_b32 s17, s11
	s_branch .LBB20_3
.LBB20_2:                               ;   in Loop: Header=BB20_3 Depth=1
	s_or_b64 exec, exec, s[0:1]
	s_add_i32 s17, s17, -1
	v_add_co_u32_e32 v7, vcc, 8, v7
	v_addc_co_u32_e32 v8, vcc, 0, v8, vcc
	s_cmp_eq_u32 s17, 0
	v_add_u32_e32 v14, 32, v14
	s_cbranch_scc1 .LBB20_5
.LBB20_3:                               ; =>This Inner Loop Header: Depth=1
	v_add_co_u32_e32 v9, vcc, s16, v7
	v_addc_co_u32_e32 v10, vcc, v8, v13, vcc
	v_add_u32_e32 v11, s21, v14
	s_waitcnt lgkmcnt(0)
	v_cmp_gt_i32_e32 vcc, s20, v11
	v_cmp_gt_u32_e64 s[0:1], s10, v14
	s_and_b64 s[22:23], s[0:1], vcc
	global_store_dwordx2 v[7:8], v[5:6], off
	global_store_dwordx2 v[9:10], v[5:6], off
	s_and_saveexec_b64 s[0:1], s[22:23]
	s_cbranch_execz .LBB20_2
; %bb.4:                                ;   in Loop: Header=BB20_3 Depth=1
	v_ashrrev_i32_e32 v12, 31, v11
	v_lshlrev_b64 v[11:12], 3, v[11:12]
	v_mov_b32_e32 v15, s13
	v_add_co_u32_e32 v11, vcc, s12, v11
	v_addc_co_u32_e32 v12, vcc, v15, v12, vcc
	global_load_dwordx4 v[15:18], v[11:12], off
	s_waitcnt vmcnt(0)
	v_subrev_co_u32_e32 v11, vcc, s7, v15
	v_subbrev_co_u32_e32 v12, vcc, 0, v16, vcc
	v_subrev_co_u32_e32 v15, vcc, s7, v17
	v_subbrev_co_u32_e32 v16, vcc, 0, v18, vcc
	global_store_dwordx2 v[7:8], v[11:12], off
	global_store_dwordx2 v[9:10], v[15:16], off
	s_branch .LBB20_2
.LBB20_5:
	s_load_dwordx2 s[12:13], s[4:5], 0x38
	s_cmp_lt_i32 s9, 1
	v_cmp_eq_u32_e64 s[0:1], 31, v0
	s_cbranch_scc1 .LBB20_20
; %bb.6:
	s_lshl_b64 s[14:15], s[14:15], 3
	s_add_u32 s16, s18, s14
	s_addc_u32 s18, s19, s15
	s_abs_i32 s33, s10
	v_cvt_f32_u32_e32 v5, s33
	s_sub_i32 s19, 0, s33
	v_mbcnt_lo_u32_b32 v6, -1, 0
	v_mov_b32_e32 v7, 0x7c
	v_rcp_iflag_f32_e32 v5, v5
	v_mbcnt_hi_u32_b32 v6, -1, v6
	s_load_dwordx2 s[14:15], s[4:5], 0x28
	v_lshl_or_b32 v14, v6, 2, v7
	v_mul_f32_e32 v5, 0x4f7ffffe, v5
	v_cvt_u32_f32_e32 v5, v5
	v_mov_b32_e32 v6, s18
	v_add_co_u32_e32 v15, vcc, s16, v3
	v_mul_lo_u32 v8, s19, v5
	v_cndmask_b32_e64 v3, 0, 1, s[2:3]
	s_mov_b32 s17, 0
	v_mov_b32_e32 v18, 0
	v_mul_hi_u32 v7, v5, v8
	s_ashr_i32 s10, s10, 31
	v_addc_co_u32_e32 v16, vcc, v6, v4, vcc
	v_add_u32_e32 v17, v5, v7
	s_mov_b64 s[18:19], 0
	v_cmp_ne_u32_e64 s[2:3], 1, v3
	v_mov_b32_e32 v3, 0
	s_branch .LBB20_8
.LBB20_7:                               ;   in Loop: Header=BB20_8 Depth=1
	s_nop 0
	v_mov_b32_dpp v4, v19 row_shr:1 row_mask:0xf bank_mask:0xf
	v_min_i32_e32 v4, v4, v19
	s_nop 1
	v_mov_b32_dpp v5, v4 row_shr:2 row_mask:0xf bank_mask:0xf
	v_min_i32_e32 v4, v5, v4
	;; [unrolled: 3-line block ×4, first 2 shown]
	s_nop 1
	v_mov_b32_dpp v5, v4 row_bcast:15 row_mask:0xa bank_mask:0xf
	v_min_i32_e32 v4, v5, v4
	ds_bpermute_b32 v4, v14, v4
	s_waitcnt lgkmcnt(0)
	v_cmp_gt_i32_e32 vcc, s9, v4
	v_add_u32_e32 v18, 1, v4
	s_and_b64 s[20:21], s[0:1], vcc
	v_cndmask_b32_e64 v4, 0, 1, s[20:21]
	v_cmp_le_i32_e32 vcc, s9, v18
	s_or_b64 s[18:19], vcc, s[18:19]
	v_add_u32_e32 v3, v3, v4
	s_andn2_b64 exec, exec, s[18:19]
	s_cbranch_execz .LBB20_19
.LBB20_8:                               ; =>This Loop Header: Depth=1
                                        ;     Child Loop BB20_12 Depth 2
                                        ;       Child Loop BB20_15 Depth 3
	s_and_b64 vcc, exec, s[2:3]
	v_mov_b32_e32 v19, s9
	s_cbranch_vccnz .LBB20_7
; %bb.9:                                ;   in Loop: Header=BB20_8 Depth=1
	s_mov_b32 s16, 0
	v_mov_b32_e32 v19, s9
	s_branch .LBB20_12
.LBB20_10:                              ;   in Loop: Header=BB20_12 Depth=2
	s_or_b64 exec, exec, s[22:23]
.LBB20_11:                              ;   in Loop: Header=BB20_12 Depth=2
	s_or_b64 exec, exec, s[20:21]
	s_add_i32 s16, s16, 1
	s_cmp_eq_u32 s16, s11
	s_cbranch_scc1 .LBB20_7
.LBB20_12:                              ;   Parent Loop BB20_8 Depth=1
                                        ; =>  This Loop Header: Depth=2
                                        ;       Child Loop BB20_15 Depth 3
	s_lshl_b64 s[20:21], s[16:17], 3
	v_mov_b32_e32 v6, s21
	v_add_co_u32_e32 v4, vcc, s20, v1
	v_addc_co_u32_e32 v5, vcc, v2, v6, vcc
	v_add_co_u32_e32 v8, vcc, s20, v15
	v_addc_co_u32_e32 v9, vcc, v16, v6, vcc
	global_load_dwordx2 v[12:13], v[4:5], off
	global_load_dwordx2 v[6:7], v[8:9], off
	s_waitcnt vmcnt(0)
	v_cmp_lt_i64_e32 vcc, v[12:13], v[6:7]
	s_and_saveexec_b64 s[20:21], vcc
	s_cbranch_execz .LBB20_11
; %bb.13:                               ;   in Loop: Header=BB20_12 Depth=2
	v_lshlrev_b64 v[8:9], 2, v[12:13]
	s_waitcnt lgkmcnt(0)
	v_mov_b32_e32 v10, s15
	v_add_co_u32_e32 v8, vcc, s14, v8
	v_addc_co_u32_e32 v9, vcc, v10, v9, vcc
	s_mov_b64 s[22:23], 0
                                        ; implicit-def: $sgpr24_sgpr25
                                        ; implicit-def: $sgpr28_sgpr29
                                        ; implicit-def: $sgpr26_sgpr27
	s_branch .LBB20_15
.LBB20_14:                              ;   in Loop: Header=BB20_15 Depth=3
	s_or_b64 exec, exec, s[30:31]
	s_and_b64 s[30:31], exec, s[28:29]
	s_or_b64 s[22:23], s[30:31], s[22:23]
	s_andn2_b64 s[24:25], s[24:25], exec
	s_and_b64 s[30:31], s[26:27], exec
	s_or_b64 s[24:25], s[24:25], s[30:31]
	s_andn2_b64 exec, exec, s[22:23]
	s_cbranch_execz .LBB20_17
.LBB20_15:                              ;   Parent Loop BB20_8 Depth=1
                                        ;     Parent Loop BB20_12 Depth=2
                                        ; =>    This Inner Loop Header: Depth=3
	global_load_dword v10, v[8:9], off
	s_or_b64 s[26:27], s[26:27], exec
	s_or_b64 s[28:29], s[28:29], exec
	s_waitcnt vmcnt(0)
	v_subrev_u32_e32 v20, s7, v10
	v_sub_u32_e32 v10, 0, v20
	v_max_i32_e32 v21, v20, v10
	v_mul_hi_u32 v22, v21, v17
	v_mov_b32_e32 v10, v12
	v_mov_b32_e32 v11, v13
	v_ashrrev_i32_e32 v13, 31, v20
	v_mul_lo_u32 v12, v22, s33
	v_add_u32_e32 v20, 1, v22
	v_xor_b32_e32 v13, s10, v13
	v_sub_u32_e32 v12, v21, v12
	v_cmp_le_u32_e32 vcc, s33, v12
	v_subrev_u32_e32 v21, s33, v12
	v_cndmask_b32_e32 v20, v22, v20, vcc
	v_cndmask_b32_e32 v12, v12, v21, vcc
	v_add_u32_e32 v21, 1, v20
	v_cmp_le_u32_e32 vcc, s33, v12
	v_cndmask_b32_e32 v12, v20, v21, vcc
	v_xor_b32_e32 v12, v12, v13
	v_sub_u32_e32 v20, v12, v13
	v_cmp_lt_i32_e32 vcc, v20, v18
                                        ; implicit-def: $vgpr12_vgpr13
	s_and_saveexec_b64 s[30:31], vcc
	s_cbranch_execz .LBB20_14
; %bb.16:                               ;   in Loop: Header=BB20_15 Depth=3
	v_add_co_u32_e32 v12, vcc, 1, v10
	v_addc_co_u32_e32 v13, vcc, 0, v11, vcc
	v_add_co_u32_e32 v8, vcc, 4, v8
	v_addc_co_u32_e32 v9, vcc, 0, v9, vcc
	v_cmp_ge_i64_e32 vcc, v[12:13], v[6:7]
	s_andn2_b64 s[28:29], s[28:29], exec
	s_and_b64 s[34:35], vcc, exec
	s_andn2_b64 s[26:27], s[26:27], exec
	s_or_b64 s[28:29], s[28:29], s[34:35]
	s_branch .LBB20_14
.LBB20_17:                              ;   in Loop: Header=BB20_12 Depth=2
	s_or_b64 exec, exec, s[22:23]
	s_and_saveexec_b64 s[22:23], s[24:25]
	s_xor_b64 s[22:23], exec, s[22:23]
	s_cbranch_execz .LBB20_10
; %bb.18:                               ;   in Loop: Header=BB20_12 Depth=2
	v_min_i32_e32 v19, v20, v19
	global_store_dwordx2 v[4:5], v[10:11], off
	s_branch .LBB20_10
.LBB20_19:
	s_or_b64 exec, exec, s[18:19]
	v_mov_b32_e32 v4, 0
	s_branch .LBB20_21
.LBB20_20:
	v_mov_b32_e32 v3, 0
	v_mov_b32_e32 v4, 0
.LBB20_21:
	s_cmp_lt_i32 s6, s8
	s_cselect_b64 s[0:1], -1, 0
	v_cmp_eq_u32_e32 vcc, 31, v0
	s_and_b64 s[0:1], vcc, s[0:1]
	s_and_saveexec_b64 s[2:3], s[0:1]
	s_cbranch_execz .LBB20_23
; %bb.22:
	s_load_dword s2, s[4:5], 0x30
	s_ashr_i32 s7, s6, 31
	s_lshl_b64 s[0:1], s[6:7], 3
	v_mov_b32_e32 v1, 0
	s_waitcnt lgkmcnt(0)
	s_add_u32 s0, s12, s0
	v_mov_b32_e32 v0, s2
	s_addc_u32 s1, s13, s1
	global_store_dwordx2 v1, v[0:1], s[12:13]
	global_store_dwordx2 v1, v[3:4], s[0:1] offset:8
.LBB20_23:
	s_endpgm
	.section	.rodata,"a",@progbits
	.p2align	6, 0x0
	.amdhsa_kernel _ZN9rocsparseL25csr2bsr_nnz_65_inf_kernelILj32EliEEvT1_S1_S1_S1_S1_S1_21rocsparse_index_base_PKT0_PKS1_S2_PS3_S8_
		.amdhsa_group_segment_fixed_size 0
		.amdhsa_private_segment_fixed_size 0
		.amdhsa_kernarg_size 72
		.amdhsa_user_sgpr_count 6
		.amdhsa_user_sgpr_private_segment_buffer 1
		.amdhsa_user_sgpr_dispatch_ptr 0
		.amdhsa_user_sgpr_queue_ptr 0
		.amdhsa_user_sgpr_kernarg_segment_ptr 1
		.amdhsa_user_sgpr_dispatch_id 0
		.amdhsa_user_sgpr_flat_scratch_init 0
		.amdhsa_user_sgpr_private_segment_size 0
		.amdhsa_uses_dynamic_stack 0
		.amdhsa_system_sgpr_private_segment_wavefront_offset 0
		.amdhsa_system_sgpr_workgroup_id_x 1
		.amdhsa_system_sgpr_workgroup_id_y 0
		.amdhsa_system_sgpr_workgroup_id_z 0
		.amdhsa_system_sgpr_workgroup_info 0
		.amdhsa_system_vgpr_workitem_id 0
		.amdhsa_next_free_vgpr 23
		.amdhsa_next_free_sgpr 36
		.amdhsa_reserve_vcc 1
		.amdhsa_reserve_flat_scratch 0
		.amdhsa_float_round_mode_32 0
		.amdhsa_float_round_mode_16_64 0
		.amdhsa_float_denorm_mode_32 3
		.amdhsa_float_denorm_mode_16_64 3
		.amdhsa_dx10_clamp 1
		.amdhsa_ieee_mode 1
		.amdhsa_fp16_overflow 0
		.amdhsa_exception_fp_ieee_invalid_op 0
		.amdhsa_exception_fp_denorm_src 0
		.amdhsa_exception_fp_ieee_div_zero 0
		.amdhsa_exception_fp_ieee_overflow 0
		.amdhsa_exception_fp_ieee_underflow 0
		.amdhsa_exception_fp_ieee_inexact 0
		.amdhsa_exception_int_div_zero 0
	.end_amdhsa_kernel
	.section	.text._ZN9rocsparseL25csr2bsr_nnz_65_inf_kernelILj32EliEEvT1_S1_S1_S1_S1_S1_21rocsparse_index_base_PKT0_PKS1_S2_PS3_S8_,"axG",@progbits,_ZN9rocsparseL25csr2bsr_nnz_65_inf_kernelILj32EliEEvT1_S1_S1_S1_S1_S1_21rocsparse_index_base_PKT0_PKS1_S2_PS3_S8_,comdat
.Lfunc_end20:
	.size	_ZN9rocsparseL25csr2bsr_nnz_65_inf_kernelILj32EliEEvT1_S1_S1_S1_S1_S1_21rocsparse_index_base_PKT0_PKS1_S2_PS3_S8_, .Lfunc_end20-_ZN9rocsparseL25csr2bsr_nnz_65_inf_kernelILj32EliEEvT1_S1_S1_S1_S1_S1_21rocsparse_index_base_PKT0_PKS1_S2_PS3_S8_
                                        ; -- End function
	.set _ZN9rocsparseL25csr2bsr_nnz_65_inf_kernelILj32EliEEvT1_S1_S1_S1_S1_S1_21rocsparse_index_base_PKT0_PKS1_S2_PS3_S8_.num_vgpr, 23
	.set _ZN9rocsparseL25csr2bsr_nnz_65_inf_kernelILj32EliEEvT1_S1_S1_S1_S1_S1_21rocsparse_index_base_PKT0_PKS1_S2_PS3_S8_.num_agpr, 0
	.set _ZN9rocsparseL25csr2bsr_nnz_65_inf_kernelILj32EliEEvT1_S1_S1_S1_S1_S1_21rocsparse_index_base_PKT0_PKS1_S2_PS3_S8_.numbered_sgpr, 36
	.set _ZN9rocsparseL25csr2bsr_nnz_65_inf_kernelILj32EliEEvT1_S1_S1_S1_S1_S1_21rocsparse_index_base_PKT0_PKS1_S2_PS3_S8_.num_named_barrier, 0
	.set _ZN9rocsparseL25csr2bsr_nnz_65_inf_kernelILj32EliEEvT1_S1_S1_S1_S1_S1_21rocsparse_index_base_PKT0_PKS1_S2_PS3_S8_.private_seg_size, 0
	.set _ZN9rocsparseL25csr2bsr_nnz_65_inf_kernelILj32EliEEvT1_S1_S1_S1_S1_S1_21rocsparse_index_base_PKT0_PKS1_S2_PS3_S8_.uses_vcc, 1
	.set _ZN9rocsparseL25csr2bsr_nnz_65_inf_kernelILj32EliEEvT1_S1_S1_S1_S1_S1_21rocsparse_index_base_PKT0_PKS1_S2_PS3_S8_.uses_flat_scratch, 0
	.set _ZN9rocsparseL25csr2bsr_nnz_65_inf_kernelILj32EliEEvT1_S1_S1_S1_S1_S1_21rocsparse_index_base_PKT0_PKS1_S2_PS3_S8_.has_dyn_sized_stack, 0
	.set _ZN9rocsparseL25csr2bsr_nnz_65_inf_kernelILj32EliEEvT1_S1_S1_S1_S1_S1_21rocsparse_index_base_PKT0_PKS1_S2_PS3_S8_.has_recursion, 0
	.set _ZN9rocsparseL25csr2bsr_nnz_65_inf_kernelILj32EliEEvT1_S1_S1_S1_S1_S1_21rocsparse_index_base_PKT0_PKS1_S2_PS3_S8_.has_indirect_call, 0
	.section	.AMDGPU.csdata,"",@progbits
; Kernel info:
; codeLenInByte = 1088
; TotalNumSgprs: 40
; NumVgprs: 23
; ScratchSize: 0
; MemoryBound: 0
; FloatMode: 240
; IeeeMode: 1
; LDSByteSize: 0 bytes/workgroup (compile time only)
; SGPRBlocks: 4
; VGPRBlocks: 5
; NumSGPRsForWavesPerEU: 40
; NumVGPRsForWavesPerEU: 23
; Occupancy: 10
; WaveLimiterHint : 0
; COMPUTE_PGM_RSRC2:SCRATCH_EN: 0
; COMPUTE_PGM_RSRC2:USER_SGPR: 6
; COMPUTE_PGM_RSRC2:TRAP_HANDLER: 0
; COMPUTE_PGM_RSRC2:TGID_X_EN: 1
; COMPUTE_PGM_RSRC2:TGID_Y_EN: 0
; COMPUTE_PGM_RSRC2:TGID_Z_EN: 0
; COMPUTE_PGM_RSRC2:TIDIG_COMP_CNT: 0
	.section	.text._ZN9rocsparseL36csr2bsr_nnz_compute_nnz_total_kernelILj1EliEEvT1_PKT0_PS2_,"axG",@progbits,_ZN9rocsparseL36csr2bsr_nnz_compute_nnz_total_kernelILj1EliEEvT1_PKT0_PS2_,comdat
	.globl	_ZN9rocsparseL36csr2bsr_nnz_compute_nnz_total_kernelILj1EliEEvT1_PKT0_PS2_ ; -- Begin function _ZN9rocsparseL36csr2bsr_nnz_compute_nnz_total_kernelILj1EliEEvT1_PKT0_PS2_
	.p2align	8
	.type	_ZN9rocsparseL36csr2bsr_nnz_compute_nnz_total_kernelILj1EliEEvT1_PKT0_PS2_,@function
_ZN9rocsparseL36csr2bsr_nnz_compute_nnz_total_kernelILj1EliEEvT1_PKT0_PS2_: ; @_ZN9rocsparseL36csr2bsr_nnz_compute_nnz_total_kernelILj1EliEEvT1_PKT0_PS2_
; %bb.0:
	s_sub_i32 s0, 0, s6
	s_cmp_lg_u32 s0, 0
	s_cbranch_scc1 .LBB21_2
; %bb.1:
	s_load_dword s6, s[4:5], 0x0
	s_load_dwordx4 s[0:3], s[4:5], 0x8
	v_mov_b32_e32 v2, 0
	s_waitcnt lgkmcnt(0)
	s_ashr_i32 s7, s6, 31
	s_lshl_b64 s[4:5], s[6:7], 3
	s_add_u32 s4, s0, s4
	s_addc_u32 s5, s1, s5
	s_load_dwordx2 s[6:7], s[4:5], 0x0
	s_load_dwordx2 s[8:9], s[0:1], 0x0
	s_waitcnt lgkmcnt(0)
	s_sub_u32 s0, s6, s8
	s_subb_u32 s1, s7, s9
	v_mov_b32_e32 v0, s0
	v_mov_b32_e32 v1, s1
	global_store_dwordx2 v2, v[0:1], s[2:3]
.LBB21_2:
	s_endpgm
	.section	.rodata,"a",@progbits
	.p2align	6, 0x0
	.amdhsa_kernel _ZN9rocsparseL36csr2bsr_nnz_compute_nnz_total_kernelILj1EliEEvT1_PKT0_PS2_
		.amdhsa_group_segment_fixed_size 0
		.amdhsa_private_segment_fixed_size 0
		.amdhsa_kernarg_size 24
		.amdhsa_user_sgpr_count 6
		.amdhsa_user_sgpr_private_segment_buffer 1
		.amdhsa_user_sgpr_dispatch_ptr 0
		.amdhsa_user_sgpr_queue_ptr 0
		.amdhsa_user_sgpr_kernarg_segment_ptr 1
		.amdhsa_user_sgpr_dispatch_id 0
		.amdhsa_user_sgpr_flat_scratch_init 0
		.amdhsa_user_sgpr_private_segment_size 0
		.amdhsa_uses_dynamic_stack 0
		.amdhsa_system_sgpr_private_segment_wavefront_offset 0
		.amdhsa_system_sgpr_workgroup_id_x 1
		.amdhsa_system_sgpr_workgroup_id_y 0
		.amdhsa_system_sgpr_workgroup_id_z 0
		.amdhsa_system_sgpr_workgroup_info 0
		.amdhsa_system_vgpr_workitem_id 0
		.amdhsa_next_free_vgpr 3
		.amdhsa_next_free_sgpr 10
		.amdhsa_reserve_vcc 0
		.amdhsa_reserve_flat_scratch 0
		.amdhsa_float_round_mode_32 0
		.amdhsa_float_round_mode_16_64 0
		.amdhsa_float_denorm_mode_32 3
		.amdhsa_float_denorm_mode_16_64 3
		.amdhsa_dx10_clamp 1
		.amdhsa_ieee_mode 1
		.amdhsa_fp16_overflow 0
		.amdhsa_exception_fp_ieee_invalid_op 0
		.amdhsa_exception_fp_denorm_src 0
		.amdhsa_exception_fp_ieee_div_zero 0
		.amdhsa_exception_fp_ieee_overflow 0
		.amdhsa_exception_fp_ieee_underflow 0
		.amdhsa_exception_fp_ieee_inexact 0
		.amdhsa_exception_int_div_zero 0
	.end_amdhsa_kernel
	.section	.text._ZN9rocsparseL36csr2bsr_nnz_compute_nnz_total_kernelILj1EliEEvT1_PKT0_PS2_,"axG",@progbits,_ZN9rocsparseL36csr2bsr_nnz_compute_nnz_total_kernelILj1EliEEvT1_PKT0_PS2_,comdat
.Lfunc_end21:
	.size	_ZN9rocsparseL36csr2bsr_nnz_compute_nnz_total_kernelILj1EliEEvT1_PKT0_PS2_, .Lfunc_end21-_ZN9rocsparseL36csr2bsr_nnz_compute_nnz_total_kernelILj1EliEEvT1_PKT0_PS2_
                                        ; -- End function
	.set _ZN9rocsparseL36csr2bsr_nnz_compute_nnz_total_kernelILj1EliEEvT1_PKT0_PS2_.num_vgpr, 3
	.set _ZN9rocsparseL36csr2bsr_nnz_compute_nnz_total_kernelILj1EliEEvT1_PKT0_PS2_.num_agpr, 0
	.set _ZN9rocsparseL36csr2bsr_nnz_compute_nnz_total_kernelILj1EliEEvT1_PKT0_PS2_.numbered_sgpr, 10
	.set _ZN9rocsparseL36csr2bsr_nnz_compute_nnz_total_kernelILj1EliEEvT1_PKT0_PS2_.num_named_barrier, 0
	.set _ZN9rocsparseL36csr2bsr_nnz_compute_nnz_total_kernelILj1EliEEvT1_PKT0_PS2_.private_seg_size, 0
	.set _ZN9rocsparseL36csr2bsr_nnz_compute_nnz_total_kernelILj1EliEEvT1_PKT0_PS2_.uses_vcc, 0
	.set _ZN9rocsparseL36csr2bsr_nnz_compute_nnz_total_kernelILj1EliEEvT1_PKT0_PS2_.uses_flat_scratch, 0
	.set _ZN9rocsparseL36csr2bsr_nnz_compute_nnz_total_kernelILj1EliEEvT1_PKT0_PS2_.has_dyn_sized_stack, 0
	.set _ZN9rocsparseL36csr2bsr_nnz_compute_nnz_total_kernelILj1EliEEvT1_PKT0_PS2_.has_recursion, 0
	.set _ZN9rocsparseL36csr2bsr_nnz_compute_nnz_total_kernelILj1EliEEvT1_PKT0_PS2_.has_indirect_call, 0
	.section	.AMDGPU.csdata,"",@progbits
; Kernel info:
; codeLenInByte = 100
; TotalNumSgprs: 14
; NumVgprs: 3
; ScratchSize: 0
; MemoryBound: 0
; FloatMode: 240
; IeeeMode: 1
; LDSByteSize: 0 bytes/workgroup (compile time only)
; SGPRBlocks: 1
; VGPRBlocks: 0
; NumSGPRsForWavesPerEU: 14
; NumVGPRsForWavesPerEU: 3
; Occupancy: 10
; WaveLimiterHint : 0
; COMPUTE_PGM_RSRC2:SCRATCH_EN: 0
; COMPUTE_PGM_RSRC2:USER_SGPR: 6
; COMPUTE_PGM_RSRC2:TRAP_HANDLER: 0
; COMPUTE_PGM_RSRC2:TGID_X_EN: 1
; COMPUTE_PGM_RSRC2:TGID_Y_EN: 0
; COMPUTE_PGM_RSRC2:TGID_Z_EN: 0
; COMPUTE_PGM_RSRC2:TIDIG_COMP_CNT: 0
	.section	.text._ZN9rocsparseL39csr2bsr_nnz_block_dim_equals_one_kernelILj256EilEEvT1_21rocsparse_index_base_PKT0_S2_PS3_S6_,"axG",@progbits,_ZN9rocsparseL39csr2bsr_nnz_block_dim_equals_one_kernelILj256EilEEvT1_21rocsparse_index_base_PKT0_S2_PS3_S6_,comdat
	.globl	_ZN9rocsparseL39csr2bsr_nnz_block_dim_equals_one_kernelILj256EilEEvT1_21rocsparse_index_base_PKT0_S2_PS3_S6_ ; -- Begin function _ZN9rocsparseL39csr2bsr_nnz_block_dim_equals_one_kernelILj256EilEEvT1_21rocsparse_index_base_PKT0_S2_PS3_S6_
	.p2align	8
	.type	_ZN9rocsparseL39csr2bsr_nnz_block_dim_equals_one_kernelILj256EilEEvT1_21rocsparse_index_base_PKT0_S2_PS3_S6_,@function
_ZN9rocsparseL39csr2bsr_nnz_block_dim_equals_one_kernelILj256EilEEvT1_21rocsparse_index_base_PKT0_S2_PS3_S6_: ; @_ZN9rocsparseL39csr2bsr_nnz_block_dim_equals_one_kernelILj256EilEEvT1_21rocsparse_index_base_PKT0_S2_PS3_S6_
; %bb.0:
	s_load_dword s7, s[4:5], 0x3c
	s_load_dwordx2 s[2:3], s[4:5], 0x0
	s_load_dwordx2 s[0:1], s[4:5], 0x10
	v_mov_b32_e32 v1, 0
	s_waitcnt lgkmcnt(0)
	s_and_b32 s7, s7, 0xffff
	s_mul_i32 s6, s6, s7
	v_add_u32_e32 v0, s6, v0
	v_cmp_ge_i64_e32 vcc, s[2:3], v[0:1]
	s_and_saveexec_b64 s[6:7], vcc
	s_cbranch_execnz .LBB22_3
; %bb.1:
	s_or_b64 exec, exec, s[6:7]
	v_cmp_eq_u32_e32 vcc, 0, v0
	s_and_saveexec_b64 s[6:7], vcc
	s_cbranch_execnz .LBB22_4
.LBB22_2:
	s_endpgm
.LBB22_3:
	v_lshlrev_b64 v[1:2], 2, v[0:1]
	v_mov_b32_e32 v4, s1
	v_add_co_u32_e32 v3, vcc, s0, v1
	v_addc_co_u32_e32 v4, vcc, v4, v2, vcc
	global_load_dword v3, v[3:4], off
	s_load_dwordx2 s[8:9], s[4:5], 0x20
	s_load_dword s10, s[4:5], 0x8
	s_load_dword s11, s[4:5], 0x18
	s_waitcnt lgkmcnt(0)
	v_mov_b32_e32 v4, s9
	v_add_co_u32_e32 v1, vcc, s8, v1
	s_sub_i32 s8, s11, s10
	v_addc_co_u32_e32 v2, vcc, v4, v2, vcc
	s_waitcnt vmcnt(0)
	v_add_u32_e32 v3, s8, v3
	global_store_dword v[1:2], v3, off
	s_or_b64 exec, exec, s[6:7]
	v_cmp_eq_u32_e32 vcc, 0, v0
	s_and_saveexec_b64 s[6:7], vcc
	s_cbranch_execz .LBB22_2
.LBB22_4:
	s_lshl_b64 s[2:3], s[2:3], 2
	s_add_u32 s2, s0, s2
	s_addc_u32 s3, s1, s3
	s_load_dword s8, s[2:3], 0x0
	s_load_dword s9, s[0:1], 0x0
	s_load_dwordx2 s[6:7], s[4:5], 0x28
	v_mov_b32_e32 v0, 0
	s_waitcnt lgkmcnt(0)
	s_sub_i32 s0, s8, s9
	v_mov_b32_e32 v1, s0
	global_store_dword v0, v1, s[6:7]
	s_endpgm
	.section	.rodata,"a",@progbits
	.p2align	6, 0x0
	.amdhsa_kernel _ZN9rocsparseL39csr2bsr_nnz_block_dim_equals_one_kernelILj256EilEEvT1_21rocsparse_index_base_PKT0_S2_PS3_S6_
		.amdhsa_group_segment_fixed_size 0
		.amdhsa_private_segment_fixed_size 0
		.amdhsa_kernarg_size 304
		.amdhsa_user_sgpr_count 6
		.amdhsa_user_sgpr_private_segment_buffer 1
		.amdhsa_user_sgpr_dispatch_ptr 0
		.amdhsa_user_sgpr_queue_ptr 0
		.amdhsa_user_sgpr_kernarg_segment_ptr 1
		.amdhsa_user_sgpr_dispatch_id 0
		.amdhsa_user_sgpr_flat_scratch_init 0
		.amdhsa_user_sgpr_private_segment_size 0
		.amdhsa_uses_dynamic_stack 0
		.amdhsa_system_sgpr_private_segment_wavefront_offset 0
		.amdhsa_system_sgpr_workgroup_id_x 1
		.amdhsa_system_sgpr_workgroup_id_y 0
		.amdhsa_system_sgpr_workgroup_id_z 0
		.amdhsa_system_sgpr_workgroup_info 0
		.amdhsa_system_vgpr_workitem_id 0
		.amdhsa_next_free_vgpr 5
		.amdhsa_next_free_sgpr 12
		.amdhsa_reserve_vcc 1
		.amdhsa_reserve_flat_scratch 0
		.amdhsa_float_round_mode_32 0
		.amdhsa_float_round_mode_16_64 0
		.amdhsa_float_denorm_mode_32 3
		.amdhsa_float_denorm_mode_16_64 3
		.amdhsa_dx10_clamp 1
		.amdhsa_ieee_mode 1
		.amdhsa_fp16_overflow 0
		.amdhsa_exception_fp_ieee_invalid_op 0
		.amdhsa_exception_fp_denorm_src 0
		.amdhsa_exception_fp_ieee_div_zero 0
		.amdhsa_exception_fp_ieee_overflow 0
		.amdhsa_exception_fp_ieee_underflow 0
		.amdhsa_exception_fp_ieee_inexact 0
		.amdhsa_exception_int_div_zero 0
	.end_amdhsa_kernel
	.section	.text._ZN9rocsparseL39csr2bsr_nnz_block_dim_equals_one_kernelILj256EilEEvT1_21rocsparse_index_base_PKT0_S2_PS3_S6_,"axG",@progbits,_ZN9rocsparseL39csr2bsr_nnz_block_dim_equals_one_kernelILj256EilEEvT1_21rocsparse_index_base_PKT0_S2_PS3_S6_,comdat
.Lfunc_end22:
	.size	_ZN9rocsparseL39csr2bsr_nnz_block_dim_equals_one_kernelILj256EilEEvT1_21rocsparse_index_base_PKT0_S2_PS3_S6_, .Lfunc_end22-_ZN9rocsparseL39csr2bsr_nnz_block_dim_equals_one_kernelILj256EilEEvT1_21rocsparse_index_base_PKT0_S2_PS3_S6_
                                        ; -- End function
	.set _ZN9rocsparseL39csr2bsr_nnz_block_dim_equals_one_kernelILj256EilEEvT1_21rocsparse_index_base_PKT0_S2_PS3_S6_.num_vgpr, 5
	.set _ZN9rocsparseL39csr2bsr_nnz_block_dim_equals_one_kernelILj256EilEEvT1_21rocsparse_index_base_PKT0_S2_PS3_S6_.num_agpr, 0
	.set _ZN9rocsparseL39csr2bsr_nnz_block_dim_equals_one_kernelILj256EilEEvT1_21rocsparse_index_base_PKT0_S2_PS3_S6_.numbered_sgpr, 12
	.set _ZN9rocsparseL39csr2bsr_nnz_block_dim_equals_one_kernelILj256EilEEvT1_21rocsparse_index_base_PKT0_S2_PS3_S6_.num_named_barrier, 0
	.set _ZN9rocsparseL39csr2bsr_nnz_block_dim_equals_one_kernelILj256EilEEvT1_21rocsparse_index_base_PKT0_S2_PS3_S6_.private_seg_size, 0
	.set _ZN9rocsparseL39csr2bsr_nnz_block_dim_equals_one_kernelILj256EilEEvT1_21rocsparse_index_base_PKT0_S2_PS3_S6_.uses_vcc, 1
	.set _ZN9rocsparseL39csr2bsr_nnz_block_dim_equals_one_kernelILj256EilEEvT1_21rocsparse_index_base_PKT0_S2_PS3_S6_.uses_flat_scratch, 0
	.set _ZN9rocsparseL39csr2bsr_nnz_block_dim_equals_one_kernelILj256EilEEvT1_21rocsparse_index_base_PKT0_S2_PS3_S6_.has_dyn_sized_stack, 0
	.set _ZN9rocsparseL39csr2bsr_nnz_block_dim_equals_one_kernelILj256EilEEvT1_21rocsparse_index_base_PKT0_S2_PS3_S6_.has_recursion, 0
	.set _ZN9rocsparseL39csr2bsr_nnz_block_dim_equals_one_kernelILj256EilEEvT1_21rocsparse_index_base_PKT0_S2_PS3_S6_.has_indirect_call, 0
	.section	.AMDGPU.csdata,"",@progbits
; Kernel info:
; codeLenInByte = 248
; TotalNumSgprs: 16
; NumVgprs: 5
; ScratchSize: 0
; MemoryBound: 0
; FloatMode: 240
; IeeeMode: 1
; LDSByteSize: 0 bytes/workgroup (compile time only)
; SGPRBlocks: 1
; VGPRBlocks: 1
; NumSGPRsForWavesPerEU: 16
; NumVGPRsForWavesPerEU: 5
; Occupancy: 10
; WaveLimiterHint : 0
; COMPUTE_PGM_RSRC2:SCRATCH_EN: 0
; COMPUTE_PGM_RSRC2:USER_SGPR: 6
; COMPUTE_PGM_RSRC2:TRAP_HANDLER: 0
; COMPUTE_PGM_RSRC2:TGID_X_EN: 1
; COMPUTE_PGM_RSRC2:TGID_Y_EN: 0
; COMPUTE_PGM_RSRC2:TGID_Z_EN: 0
; COMPUTE_PGM_RSRC2:TIDIG_COMP_CNT: 0
	.section	.text._ZN9rocsparseL39csr2bsr_nnz_block_dim_equals_one_kernelILj256EilEEvT1_21rocsparse_index_base_PKT0_S2_PS3_,"axG",@progbits,_ZN9rocsparseL39csr2bsr_nnz_block_dim_equals_one_kernelILj256EilEEvT1_21rocsparse_index_base_PKT0_S2_PS3_,comdat
	.globl	_ZN9rocsparseL39csr2bsr_nnz_block_dim_equals_one_kernelILj256EilEEvT1_21rocsparse_index_base_PKT0_S2_PS3_ ; -- Begin function _ZN9rocsparseL39csr2bsr_nnz_block_dim_equals_one_kernelILj256EilEEvT1_21rocsparse_index_base_PKT0_S2_PS3_
	.p2align	8
	.type	_ZN9rocsparseL39csr2bsr_nnz_block_dim_equals_one_kernelILj256EilEEvT1_21rocsparse_index_base_PKT0_S2_PS3_,@function
_ZN9rocsparseL39csr2bsr_nnz_block_dim_equals_one_kernelILj256EilEEvT1_21rocsparse_index_base_PKT0_S2_PS3_: ; @_ZN9rocsparseL39csr2bsr_nnz_block_dim_equals_one_kernelILj256EilEEvT1_21rocsparse_index_base_PKT0_S2_PS3_
; %bb.0:
	s_load_dwordx2 s[0:1], s[4:5], 0x0
	v_lshl_or_b32 v0, s6, 8, v0
	v_mov_b32_e32 v1, 0
	s_waitcnt lgkmcnt(0)
	v_cmp_ge_i64_e32 vcc, s[0:1], v[0:1]
	s_and_saveexec_b64 s[0:1], vcc
	s_cbranch_execz .LBB23_2
; %bb.1:
	s_load_dwordx2 s[0:1], s[4:5], 0x10
	s_load_dword s2, s[4:5], 0x18
	s_load_dword s3, s[4:5], 0x8
	v_lshlrev_b64 v[0:1], 2, v[0:1]
	s_waitcnt lgkmcnt(0)
	v_mov_b32_e32 v3, s1
	v_add_co_u32_e32 v2, vcc, s0, v0
	v_addc_co_u32_e32 v3, vcc, v3, v1, vcc
	global_load_dword v2, v[2:3], off
	s_load_dwordx2 s[0:1], s[4:5], 0x20
	s_waitcnt lgkmcnt(0)
	v_mov_b32_e32 v3, s1
	v_add_co_u32_e32 v0, vcc, s0, v0
	s_sub_i32 s0, s2, s3
	v_addc_co_u32_e32 v1, vcc, v3, v1, vcc
	s_waitcnt vmcnt(0)
	v_add_u32_e32 v2, s0, v2
	global_store_dword v[0:1], v2, off
.LBB23_2:
	s_endpgm
	.section	.rodata,"a",@progbits
	.p2align	6, 0x0
	.amdhsa_kernel _ZN9rocsparseL39csr2bsr_nnz_block_dim_equals_one_kernelILj256EilEEvT1_21rocsparse_index_base_PKT0_S2_PS3_
		.amdhsa_group_segment_fixed_size 0
		.amdhsa_private_segment_fixed_size 0
		.amdhsa_kernarg_size 40
		.amdhsa_user_sgpr_count 6
		.amdhsa_user_sgpr_private_segment_buffer 1
		.amdhsa_user_sgpr_dispatch_ptr 0
		.amdhsa_user_sgpr_queue_ptr 0
		.amdhsa_user_sgpr_kernarg_segment_ptr 1
		.amdhsa_user_sgpr_dispatch_id 0
		.amdhsa_user_sgpr_flat_scratch_init 0
		.amdhsa_user_sgpr_private_segment_size 0
		.amdhsa_uses_dynamic_stack 0
		.amdhsa_system_sgpr_private_segment_wavefront_offset 0
		.amdhsa_system_sgpr_workgroup_id_x 1
		.amdhsa_system_sgpr_workgroup_id_y 0
		.amdhsa_system_sgpr_workgroup_id_z 0
		.amdhsa_system_sgpr_workgroup_info 0
		.amdhsa_system_vgpr_workitem_id 0
		.amdhsa_next_free_vgpr 4
		.amdhsa_next_free_sgpr 7
		.amdhsa_reserve_vcc 1
		.amdhsa_reserve_flat_scratch 0
		.amdhsa_float_round_mode_32 0
		.amdhsa_float_round_mode_16_64 0
		.amdhsa_float_denorm_mode_32 3
		.amdhsa_float_denorm_mode_16_64 3
		.amdhsa_dx10_clamp 1
		.amdhsa_ieee_mode 1
		.amdhsa_fp16_overflow 0
		.amdhsa_exception_fp_ieee_invalid_op 0
		.amdhsa_exception_fp_denorm_src 0
		.amdhsa_exception_fp_ieee_div_zero 0
		.amdhsa_exception_fp_ieee_overflow 0
		.amdhsa_exception_fp_ieee_underflow 0
		.amdhsa_exception_fp_ieee_inexact 0
		.amdhsa_exception_int_div_zero 0
	.end_amdhsa_kernel
	.section	.text._ZN9rocsparseL39csr2bsr_nnz_block_dim_equals_one_kernelILj256EilEEvT1_21rocsparse_index_base_PKT0_S2_PS3_,"axG",@progbits,_ZN9rocsparseL39csr2bsr_nnz_block_dim_equals_one_kernelILj256EilEEvT1_21rocsparse_index_base_PKT0_S2_PS3_,comdat
.Lfunc_end23:
	.size	_ZN9rocsparseL39csr2bsr_nnz_block_dim_equals_one_kernelILj256EilEEvT1_21rocsparse_index_base_PKT0_S2_PS3_, .Lfunc_end23-_ZN9rocsparseL39csr2bsr_nnz_block_dim_equals_one_kernelILj256EilEEvT1_21rocsparse_index_base_PKT0_S2_PS3_
                                        ; -- End function
	.set _ZN9rocsparseL39csr2bsr_nnz_block_dim_equals_one_kernelILj256EilEEvT1_21rocsparse_index_base_PKT0_S2_PS3_.num_vgpr, 4
	.set _ZN9rocsparseL39csr2bsr_nnz_block_dim_equals_one_kernelILj256EilEEvT1_21rocsparse_index_base_PKT0_S2_PS3_.num_agpr, 0
	.set _ZN9rocsparseL39csr2bsr_nnz_block_dim_equals_one_kernelILj256EilEEvT1_21rocsparse_index_base_PKT0_S2_PS3_.numbered_sgpr, 7
	.set _ZN9rocsparseL39csr2bsr_nnz_block_dim_equals_one_kernelILj256EilEEvT1_21rocsparse_index_base_PKT0_S2_PS3_.num_named_barrier, 0
	.set _ZN9rocsparseL39csr2bsr_nnz_block_dim_equals_one_kernelILj256EilEEvT1_21rocsparse_index_base_PKT0_S2_PS3_.private_seg_size, 0
	.set _ZN9rocsparseL39csr2bsr_nnz_block_dim_equals_one_kernelILj256EilEEvT1_21rocsparse_index_base_PKT0_S2_PS3_.uses_vcc, 1
	.set _ZN9rocsparseL39csr2bsr_nnz_block_dim_equals_one_kernelILj256EilEEvT1_21rocsparse_index_base_PKT0_S2_PS3_.uses_flat_scratch, 0
	.set _ZN9rocsparseL39csr2bsr_nnz_block_dim_equals_one_kernelILj256EilEEvT1_21rocsparse_index_base_PKT0_S2_PS3_.has_dyn_sized_stack, 0
	.set _ZN9rocsparseL39csr2bsr_nnz_block_dim_equals_one_kernelILj256EilEEvT1_21rocsparse_index_base_PKT0_S2_PS3_.has_recursion, 0
	.set _ZN9rocsparseL39csr2bsr_nnz_block_dim_equals_one_kernelILj256EilEEvT1_21rocsparse_index_base_PKT0_S2_PS3_.has_indirect_call, 0
	.section	.AMDGPU.csdata,"",@progbits
; Kernel info:
; codeLenInByte = 140
; TotalNumSgprs: 11
; NumVgprs: 4
; ScratchSize: 0
; MemoryBound: 0
; FloatMode: 240
; IeeeMode: 1
; LDSByteSize: 0 bytes/workgroup (compile time only)
; SGPRBlocks: 1
; VGPRBlocks: 0
; NumSGPRsForWavesPerEU: 11
; NumVGPRsForWavesPerEU: 4
; Occupancy: 10
; WaveLimiterHint : 0
; COMPUTE_PGM_RSRC2:SCRATCH_EN: 0
; COMPUTE_PGM_RSRC2:USER_SGPR: 6
; COMPUTE_PGM_RSRC2:TRAP_HANDLER: 0
; COMPUTE_PGM_RSRC2:TGID_X_EN: 1
; COMPUTE_PGM_RSRC2:TGID_Y_EN: 0
; COMPUTE_PGM_RSRC2:TGID_Z_EN: 0
; COMPUTE_PGM_RSRC2:TIDIG_COMP_CNT: 0
	.section	.text._ZN9rocsparseL46csr2bsr_nnz_wavefront_per_row_multipass_kernelILj256ELj16ELj4EilEEvT3_S1_S1_S1_S1_21rocsparse_index_base_PKT2_PKS1_S2_PS3_,"axG",@progbits,_ZN9rocsparseL46csr2bsr_nnz_wavefront_per_row_multipass_kernelILj256ELj16ELj4EilEEvT3_S1_S1_S1_S1_21rocsparse_index_base_PKT2_PKS1_S2_PS3_,comdat
	.globl	_ZN9rocsparseL46csr2bsr_nnz_wavefront_per_row_multipass_kernelILj256ELj16ELj4EilEEvT3_S1_S1_S1_S1_21rocsparse_index_base_PKT2_PKS1_S2_PS3_ ; -- Begin function _ZN9rocsparseL46csr2bsr_nnz_wavefront_per_row_multipass_kernelILj256ELj16ELj4EilEEvT3_S1_S1_S1_S1_21rocsparse_index_base_PKT2_PKS1_S2_PS3_
	.p2align	8
	.type	_ZN9rocsparseL46csr2bsr_nnz_wavefront_per_row_multipass_kernelILj256ELj16ELj4EilEEvT3_S1_S1_S1_S1_21rocsparse_index_base_PKT2_PKS1_S2_PS3_,@function
_ZN9rocsparseL46csr2bsr_nnz_wavefront_per_row_multipass_kernelILj256ELj16ELj4EilEEvT3_S1_S1_S1_S1_21rocsparse_index_base_PKT2_PKS1_S2_PS3_: ; @_ZN9rocsparseL46csr2bsr_nnz_wavefront_per_row_multipass_kernelILj256ELj16ELj4EilEEvT3_S1_S1_S1_S1_21rocsparse_index_base_PKT2_PKS1_S2_PS3_
; %bb.0:
	s_load_dwordx2 s[12:13], s[4:5], 0x20
	s_load_dword s28, s[4:5], 0x28
	s_load_dwordx2 s[2:3], s[4:5], 0x30
	s_ashr_i32 s7, s6, 31
	v_lshrrev_b32_e32 v11, 4, v0
	s_lshl_b64 s[0:1], s[6:7], 4
	v_bfe_u32 v1, v0, 2, 2
	v_mov_b32_e32 v2, 0
	v_or_b32_e32 v3, s0, v11
	s_waitcnt lgkmcnt(0)
	v_mul_lo_u32 v5, v3, s13
	v_mad_u64_u32 v[3:4], s[8:9], v3, s12, v[1:2]
	s_load_dwordx2 s[14:15], s[4:5], 0x0
	s_load_dwordx4 s[8:11], s[4:5], 0x10
	s_mul_i32 s0, s1, s12
	v_add3_u32 v4, s0, v4, v5
	v_cmp_gt_i64_e64 s[0:1], s[12:13], v[1:2]
	s_waitcnt lgkmcnt(0)
	v_cmp_gt_i64_e32 vcc, s[14:15], v[3:4]
	v_lshlrev_b32_e32 v10, 3, v11
	v_mov_b32_e32 v5, v2
	v_mov_b32_e32 v6, v2
	s_and_b64 s[0:1], s[0:1], vcc
	v_mov_b32_e32 v1, 0
	ds_write_b64 v10, v[5:6]
	s_waitcnt lgkmcnt(0)
	s_barrier
	s_and_saveexec_b64 s[14:15], s[0:1]
	s_cbranch_execz .LBB24_2
; %bb.1:
	v_lshlrev_b64 v[5:6], 2, v[3:4]
	v_mov_b32_e32 v1, s3
	v_add_co_u32_e32 v5, vcc, s2, v5
	v_addc_co_u32_e32 v6, vcc, v1, v6, vcc
	global_load_dword v1, v[5:6], off
	s_waitcnt vmcnt(0)
	v_subrev_u32_e32 v1, s28, v1
.LBB24_2:
	s_or_b64 exec, exec, s[14:15]
	s_and_saveexec_b64 s[14:15], s[0:1]
	s_cbranch_execz .LBB24_4
; %bb.3:
	v_lshlrev_b64 v[2:3], 2, v[3:4]
	v_mov_b32_e32 v4, s3
	v_add_co_u32_e32 v2, vcc, s2, v2
	v_addc_co_u32_e32 v3, vcc, v4, v3, vcc
	global_load_dword v2, v[2:3], off offset:4
	s_waitcnt vmcnt(0)
	v_subrev_u32_e32 v2, s28, v2
.LBB24_4:
	s_or_b64 exec, exec, s[14:15]
	v_cmp_lt_i64_e64 s[0:1], s[10:11], 1
	v_and_b32_e32 v12, 15, v0
	s_and_b64 vcc, exec, s[0:1]
	v_cmp_eq_u32_e64 s[0:1], 0, v12
	s_cbranch_vccnz .LBB24_22
; %bb.5:
	s_load_dwordx2 s[14:15], s[4:5], 0x38
	v_and_b32_e32 v13, 3, v0
	v_mbcnt_lo_u32_b32 v0, -1, 0
	v_mbcnt_hi_u32_b32 v0, -1, v0
	v_lshlrev_b32_e32 v0, 2, v0
	v_mov_b32_e32 v5, 0
	v_or_b32_e32 v14, 12, v0
	v_or_b32_e32 v15, 60, v0
	s_mov_b64 s[16:17], 0
	v_mov_b32_e32 v6, 0
	v_mov_b32_e32 v0, 0
	;; [unrolled: 1-line block ×3, first 2 shown]
	s_ashr_i32 s18, s13, 31
	s_branch .LBB24_7
.LBB24_6:                               ;   in Loop: Header=BB24_7 Depth=1
	s_or_b64 exec, exec, s[2:3]
	v_mov_b32_dpp v5, v3 row_shr:1 row_mask:0xf bank_mask:0xf
	v_mov_b32_dpp v6, v4 row_shr:1 row_mask:0xf bank_mask:0xf
	v_cmp_lt_i64_e32 vcc, v[5:6], v[3:4]
	s_waitcnt lgkmcnt(0)
	v_cndmask_b32_e32 v4, v4, v6, vcc
	v_cndmask_b32_e32 v3, v3, v5, vcc
	s_nop 0
	v_mov_b32_dpp v6, v4 row_shr:2 row_mask:0xf bank_mask:0xf
	v_mov_b32_dpp v5, v3 row_shr:2 row_mask:0xf bank_mask:0xf
	v_cmp_lt_i64_e32 vcc, v[5:6], v[3:4]
	v_cndmask_b32_e32 v4, v4, v6, vcc
	v_cndmask_b32_e32 v3, v3, v5, vcc
	s_nop 0
	v_mov_b32_dpp v6, v4 row_shr:4 row_mask:0xf bank_mask:0xe
	v_mov_b32_dpp v5, v3 row_shr:4 row_mask:0xf bank_mask:0xe
	v_cmp_lt_i64_e32 vcc, v[5:6], v[3:4]
	;; [unrolled: 6-line block ×3, first 2 shown]
	v_cndmask_b32_e32 v3, v3, v5, vcc
	ds_bpermute_b32 v5, v15, v3
	s_waitcnt lgkmcnt(0)
	v_ashrrev_i32_e32 v6, 31, v5
	v_cmp_le_i64_e32 vcc, s[10:11], v[5:6]
	s_or_b64 s[16:17], vcc, s[16:17]
	s_andn2_b64 exec, exec, s[16:17]
	s_cbranch_execz .LBB24_21
.LBB24_7:                               ; =>This Loop Header: Depth=1
                                        ;     Child Loop BB24_10 Depth 2
	v_add_u32_e32 v7, v1, v13
	v_mov_b32_e32 v3, s10
	v_cmp_lt_i32_e32 vcc, v7, v2
	v_mov_b32_e32 v4, s11
	v_mov_b32_e32 v1, v2
	ds_write_b8 v11, v0 offset:128
	s_waitcnt lgkmcnt(0)
	s_and_saveexec_b64 s[20:21], vcc
	s_cbranch_execz .LBB24_19
; %bb.8:                                ;   in Loop: Header=BB24_7 Depth=1
	v_mov_b32_e32 v3, s10
	s_mov_b64 s[22:23], 0
	v_mov_b32_e32 v4, s11
	v_mov_b32_e32 v17, v2
	s_branch .LBB24_10
.LBB24_9:                               ;   in Loop: Header=BB24_10 Depth=2
	s_or_b64 exec, exec, s[2:3]
	v_add_u32_e32 v7, 4, v7
	v_cmp_ge_i32_e64 s[2:3], v7, v2
	s_xor_b64 s[24:25], vcc, -1
	s_or_b64 s[2:3], s[24:25], s[2:3]
	s_and_b64 s[2:3], exec, s[2:3]
	s_or_b64 s[22:23], s[2:3], s[22:23]
	v_mov_b32_e32 v17, v1
	s_andn2_b64 exec, exec, s[22:23]
	s_cbranch_execz .LBB24_18
.LBB24_10:                              ;   Parent Loop BB24_7 Depth=1
                                        ; =>  This Inner Loop Header: Depth=2
	v_ashrrev_i32_e32 v8, 31, v7
	v_lshlrev_b64 v[8:9], 3, v[7:8]
	v_mov_b32_e32 v1, s15
	v_add_co_u32_e32 v8, vcc, s14, v8
	v_addc_co_u32_e32 v9, vcc, v1, v9, vcc
	global_load_dwordx2 v[8:9], v[8:9], off
	s_waitcnt vmcnt(0)
	v_subrev_co_u32_e32 v18, vcc, s28, v8
	v_subbrev_co_u32_e32 v19, vcc, 0, v9, vcc
	v_or_b32_e32 v1, s13, v19
	v_cmp_ne_u64_e32 vcc, 0, v[0:1]
                                        ; implicit-def: $vgpr8_vgpr9
	s_and_saveexec_b64 s[2:3], vcc
	s_xor_b64 s[24:25], exec, s[2:3]
	s_cbranch_execz .LBB24_12
; %bb.11:                               ;   in Loop: Header=BB24_10 Depth=2
	s_add_u32 s2, s12, s18
	s_mov_b32 s19, s18
	s_addc_u32 s3, s13, s18
	s_xor_b64 s[26:27], s[2:3], s[18:19]
	v_cvt_f32_u32_e32 v1, s26
	v_cvt_f32_u32_e32 v8, s27
	s_sub_u32 s7, 0, s26
	s_subb_u32 s19, 0, s27
	v_mac_f32_e32 v1, 0x4f800000, v8
	v_rcp_f32_e32 v1, v1
	v_mul_f32_e32 v1, 0x5f7ffffc, v1
	v_mul_f32_e32 v8, 0x2f800000, v1
	v_trunc_f32_e32 v8, v8
	v_mac_f32_e32 v1, 0xcf800000, v8
	v_cvt_u32_f32_e32 v8, v8
	v_cvt_u32_f32_e32 v1, v1
	v_readfirstlane_b32 s29, v8
	v_readfirstlane_b32 s2, v1
	s_mul_i32 s3, s7, s29
	s_mul_hi_u32 s31, s7, s2
	s_mul_i32 s30, s19, s2
	s_add_i32 s3, s31, s3
	s_add_i32 s3, s3, s30
	s_mul_i32 s33, s7, s2
	s_mul_i32 s31, s2, s3
	s_mul_hi_u32 s34, s2, s33
	s_mul_hi_u32 s30, s2, s3
	s_add_u32 s31, s34, s31
	s_addc_u32 s30, 0, s30
	s_mul_hi_u32 s35, s29, s33
	s_mul_i32 s33, s29, s33
	s_add_u32 s31, s31, s33
	s_mul_hi_u32 s34, s29, s3
	s_addc_u32 s30, s30, s35
	s_addc_u32 s31, s34, 0
	s_mul_i32 s3, s29, s3
	s_add_u32 s3, s30, s3
	s_addc_u32 s30, 0, s31
	s_add_u32 s31, s2, s3
	s_cselect_b64 s[2:3], -1, 0
	s_cmp_lg_u64 s[2:3], 0
	s_addc_u32 s29, s29, s30
	s_mul_i32 s2, s7, s29
	s_mul_hi_u32 s3, s7, s31
	s_add_i32 s2, s3, s2
	s_mul_i32 s19, s19, s31
	s_add_i32 s2, s2, s19
	s_mul_i32 s7, s7, s31
	s_mul_hi_u32 s19, s29, s7
	s_mul_i32 s30, s29, s7
	s_mul_i32 s34, s31, s2
	s_mul_hi_u32 s7, s31, s7
	s_mul_hi_u32 s33, s31, s2
	s_add_u32 s7, s7, s34
	s_addc_u32 s33, 0, s33
	s_add_u32 s7, s7, s30
	s_mul_hi_u32 s3, s29, s2
	s_addc_u32 s7, s33, s19
	s_addc_u32 s3, s3, 0
	s_mul_i32 s2, s29, s2
	s_add_u32 s2, s7, s2
	s_addc_u32 s7, 0, s3
	s_add_u32 s19, s31, s2
	s_cselect_b64 s[2:3], -1, 0
	v_ashrrev_i32_e32 v1, 31, v19
	s_cmp_lg_u64 s[2:3], 0
	v_add_co_u32_e32 v8, vcc, v18, v1
	s_addc_u32 s7, s29, s7
	v_xor_b32_e32 v20, v8, v1
	v_addc_co_u32_e32 v18, vcc, v19, v1, vcc
	v_mad_u64_u32 v[8:9], s[2:3], v20, s7, 0
	v_mul_hi_u32 v19, v20, s19
	v_xor_b32_e32 v21, v18, v1
	v_xor_b32_e32 v1, s18, v1
	v_add_co_u32_e32 v22, vcc, v19, v8
	v_addc_co_u32_e32 v23, vcc, 0, v9, vcc
	v_mad_u64_u32 v[8:9], s[2:3], v21, s19, 0
	v_mad_u64_u32 v[18:19], s[2:3], v21, s7, 0
	v_add_co_u32_e32 v8, vcc, v22, v8
	v_addc_co_u32_e32 v8, vcc, v23, v9, vcc
	v_addc_co_u32_e32 v9, vcc, 0, v19, vcc
	v_add_co_u32_e32 v18, vcc, v8, v18
	v_addc_co_u32_e32 v19, vcc, 0, v9, vcc
	v_mul_lo_u32 v22, s27, v18
	v_mul_lo_u32 v23, s26, v19
	v_mad_u64_u32 v[8:9], s[2:3], s26, v18, 0
	v_add3_u32 v9, v9, v23, v22
	v_sub_u32_e32 v22, v21, v9
	v_mov_b32_e32 v23, s27
	v_sub_co_u32_e32 v8, vcc, v20, v8
	v_subb_co_u32_e64 v20, s[2:3], v22, v23, vcc
	v_subrev_co_u32_e64 v22, s[2:3], s26, v8
	v_subbrev_co_u32_e64 v20, s[2:3], 0, v20, s[2:3]
	v_cmp_le_u32_e64 s[2:3], s27, v20
	v_cndmask_b32_e64 v23, 0, -1, s[2:3]
	v_cmp_le_u32_e64 s[2:3], s26, v22
	v_cndmask_b32_e64 v22, 0, -1, s[2:3]
	v_cmp_eq_u32_e64 s[2:3], s27, v20
	v_cndmask_b32_e64 v20, v23, v22, s[2:3]
	v_add_co_u32_e64 v22, s[2:3], 2, v18
	v_subb_co_u32_e32 v9, vcc, v21, v9, vcc
	v_addc_co_u32_e64 v23, s[2:3], 0, v19, s[2:3]
	v_cmp_le_u32_e32 vcc, s27, v9
	v_add_co_u32_e64 v24, s[2:3], 1, v18
	v_cndmask_b32_e64 v21, 0, -1, vcc
	v_cmp_le_u32_e32 vcc, s26, v8
	v_addc_co_u32_e64 v25, s[2:3], 0, v19, s[2:3]
	v_cndmask_b32_e64 v8, 0, -1, vcc
	v_cmp_eq_u32_e32 vcc, s27, v9
	v_cmp_ne_u32_e64 s[2:3], 0, v20
	v_cndmask_b32_e32 v8, v21, v8, vcc
	v_cndmask_b32_e64 v20, v25, v23, s[2:3]
	v_cmp_ne_u32_e32 vcc, 0, v8
	v_cndmask_b32_e64 v9, v24, v22, s[2:3]
	v_cndmask_b32_e32 v8, v19, v20, vcc
	v_cndmask_b32_e32 v9, v18, v9, vcc
	v_xor_b32_e32 v18, v8, v1
	v_xor_b32_e32 v8, v9, v1
	v_sub_co_u32_e32 v8, vcc, v8, v1
	v_subb_co_u32_e32 v9, vcc, v18, v1, vcc
                                        ; implicit-def: $vgpr18
.LBB24_12:                              ;   in Loop: Header=BB24_10 Depth=2
	s_andn2_saveexec_b64 s[2:3], s[24:25]
	s_cbranch_execz .LBB24_14
; %bb.13:                               ;   in Loop: Header=BB24_10 Depth=2
	v_cvt_f32_u32_e32 v1, s12
	s_sub_i32 s7, 0, s12
	v_rcp_iflag_f32_e32 v1, v1
	v_mul_f32_e32 v1, 0x4f7ffffe, v1
	v_cvt_u32_f32_e32 v1, v1
	v_mul_lo_u32 v8, s7, v1
	v_mul_hi_u32 v8, v1, v8
	v_add_u32_e32 v1, v1, v8
	v_mul_hi_u32 v1, v18, v1
	v_mul_lo_u32 v8, v1, s12
	v_add_u32_e32 v9, 1, v1
	v_sub_u32_e32 v8, v18, v8
	v_subrev_u32_e32 v18, s12, v8
	v_cmp_le_u32_e32 vcc, s12, v8
	v_cndmask_b32_e32 v8, v8, v18, vcc
	v_cndmask_b32_e32 v1, v1, v9, vcc
	v_add_u32_e32 v9, 1, v1
	v_cmp_le_u32_e32 vcc, s12, v8
	v_cndmask_b32_e32 v8, v1, v9, vcc
	v_mov_b32_e32 v9, v0
.LBB24_14:                              ;   in Loop: Header=BB24_10 Depth=2
	s_or_b64 exec, exec, s[2:3]
	v_cmp_eq_u64_e32 vcc, v[8:9], v[5:6]
	v_cmp_ne_u64_e64 s[2:3], v[8:9], v[5:6]
	s_and_saveexec_b64 s[24:25], s[2:3]
	s_xor_b64 s[24:25], exec, s[24:25]
; %bb.15:                               ;   in Loop: Header=BB24_10 Depth=2
	v_cmp_lt_i64_e64 s[2:3], v[8:9], v[3:4]
                                        ; implicit-def: $vgpr17
	v_cndmask_b32_e64 v4, v4, v9, s[2:3]
	v_cndmask_b32_e64 v3, v3, v8, s[2:3]
; %bb.16:                               ;   in Loop: Header=BB24_10 Depth=2
	s_or_saveexec_b64 s[2:3], s[24:25]
	v_mov_b32_e32 v1, v7
	s_xor_b64 exec, exec, s[2:3]
	s_cbranch_execz .LBB24_9
; %bb.17:                               ;   in Loop: Header=BB24_10 Depth=2
	v_mov_b32_e32 v1, v17
	ds_write_b8 v11, v16 offset:128
	s_branch .LBB24_9
.LBB24_18:                              ;   in Loop: Header=BB24_7 Depth=1
	s_or_b64 exec, exec, s[22:23]
.LBB24_19:                              ;   in Loop: Header=BB24_7 Depth=1
	s_or_b64 exec, exec, s[20:21]
	v_mov_b32_dpp v5, v1 row_shr:1 row_mask:0xf bank_mask:0xf
	s_waitcnt lgkmcnt(0)
	v_min_i32_e32 v1, v5, v1
	ds_read_u8 v5, v11 offset:128
	s_waitcnt lgkmcnt(0)
	v_and_b32_e32 v5, 1, v5
	v_mov_b32_dpp v6, v1 row_shr:2 row_mask:0xf bank_mask:0xf
	v_min_i32_e32 v1, v6, v1
	ds_bpermute_b32 v1, v14, v1
	v_cmp_eq_u32_e32 vcc, 1, v5
	s_and_b64 s[20:21], s[0:1], vcc
	s_and_saveexec_b64 s[2:3], s[20:21]
	s_cbranch_execz .LBB24_6
; %bb.20:                               ;   in Loop: Header=BB24_7 Depth=1
	ds_read_b64 v[5:6], v10
	s_waitcnt lgkmcnt(0)
	v_add_co_u32_e32 v5, vcc, 1, v5
	v_addc_co_u32_e32 v6, vcc, 0, v6, vcc
	ds_write_b64 v10, v[5:6]
	s_branch .LBB24_6
.LBB24_21:
	s_or_b64 exec, exec, s[16:17]
.LBB24_22:
	v_cmp_eq_u32_e32 vcc, 0, v12
	s_and_saveexec_b64 s[0:1], vcc
	s_cbranch_execz .LBB24_25
; %bb.23:
	s_load_dword s2, s[4:5], 0x40
	s_load_dwordx2 s[0:1], s[4:5], 0x48
	v_mov_b32_e32 v1, 0
	v_lshl_or_b32 v0, s6, 4, v11
	v_cmp_gt_i64_e32 vcc, s[8:9], v[0:1]
	s_waitcnt lgkmcnt(0)
	v_mov_b32_e32 v2, s2
	global_store_dword v1, v2, s[0:1]
	s_and_b64 exec, exec, vcc
	s_cbranch_execz .LBB24_25
; %bb.24:
	v_add_u32_e32 v0, 1, v0
	ds_read_b32 v3, v10
	v_lshlrev_b64 v[0:1], 2, v[0:1]
	v_mov_b32_e32 v2, s1
	v_add_co_u32_e32 v0, vcc, s0, v0
	v_addc_co_u32_e32 v1, vcc, v2, v1, vcc
	s_waitcnt lgkmcnt(0)
	global_store_dword v[0:1], v3, off
.LBB24_25:
	s_endpgm
	.section	.rodata,"a",@progbits
	.p2align	6, 0x0
	.amdhsa_kernel _ZN9rocsparseL46csr2bsr_nnz_wavefront_per_row_multipass_kernelILj256ELj16ELj4EilEEvT3_S1_S1_S1_S1_21rocsparse_index_base_PKT2_PKS1_S2_PS3_
		.amdhsa_group_segment_fixed_size 144
		.amdhsa_private_segment_fixed_size 0
		.amdhsa_kernarg_size 80
		.amdhsa_user_sgpr_count 6
		.amdhsa_user_sgpr_private_segment_buffer 1
		.amdhsa_user_sgpr_dispatch_ptr 0
		.amdhsa_user_sgpr_queue_ptr 0
		.amdhsa_user_sgpr_kernarg_segment_ptr 1
		.amdhsa_user_sgpr_dispatch_id 0
		.amdhsa_user_sgpr_flat_scratch_init 0
		.amdhsa_user_sgpr_private_segment_size 0
		.amdhsa_uses_dynamic_stack 0
		.amdhsa_system_sgpr_private_segment_wavefront_offset 0
		.amdhsa_system_sgpr_workgroup_id_x 1
		.amdhsa_system_sgpr_workgroup_id_y 0
		.amdhsa_system_sgpr_workgroup_id_z 0
		.amdhsa_system_sgpr_workgroup_info 0
		.amdhsa_system_vgpr_workitem_id 0
		.amdhsa_next_free_vgpr 26
		.amdhsa_next_free_sgpr 36
		.amdhsa_reserve_vcc 1
		.amdhsa_reserve_flat_scratch 0
		.amdhsa_float_round_mode_32 0
		.amdhsa_float_round_mode_16_64 0
		.amdhsa_float_denorm_mode_32 3
		.amdhsa_float_denorm_mode_16_64 3
		.amdhsa_dx10_clamp 1
		.amdhsa_ieee_mode 1
		.amdhsa_fp16_overflow 0
		.amdhsa_exception_fp_ieee_invalid_op 0
		.amdhsa_exception_fp_denorm_src 0
		.amdhsa_exception_fp_ieee_div_zero 0
		.amdhsa_exception_fp_ieee_overflow 0
		.amdhsa_exception_fp_ieee_underflow 0
		.amdhsa_exception_fp_ieee_inexact 0
		.amdhsa_exception_int_div_zero 0
	.end_amdhsa_kernel
	.section	.text._ZN9rocsparseL46csr2bsr_nnz_wavefront_per_row_multipass_kernelILj256ELj16ELj4EilEEvT3_S1_S1_S1_S1_21rocsparse_index_base_PKT2_PKS1_S2_PS3_,"axG",@progbits,_ZN9rocsparseL46csr2bsr_nnz_wavefront_per_row_multipass_kernelILj256ELj16ELj4EilEEvT3_S1_S1_S1_S1_21rocsparse_index_base_PKT2_PKS1_S2_PS3_,comdat
.Lfunc_end24:
	.size	_ZN9rocsparseL46csr2bsr_nnz_wavefront_per_row_multipass_kernelILj256ELj16ELj4EilEEvT3_S1_S1_S1_S1_21rocsparse_index_base_PKT2_PKS1_S2_PS3_, .Lfunc_end24-_ZN9rocsparseL46csr2bsr_nnz_wavefront_per_row_multipass_kernelILj256ELj16ELj4EilEEvT3_S1_S1_S1_S1_21rocsparse_index_base_PKT2_PKS1_S2_PS3_
                                        ; -- End function
	.set _ZN9rocsparseL46csr2bsr_nnz_wavefront_per_row_multipass_kernelILj256ELj16ELj4EilEEvT3_S1_S1_S1_S1_21rocsparse_index_base_PKT2_PKS1_S2_PS3_.num_vgpr, 26
	.set _ZN9rocsparseL46csr2bsr_nnz_wavefront_per_row_multipass_kernelILj256ELj16ELj4EilEEvT3_S1_S1_S1_S1_21rocsparse_index_base_PKT2_PKS1_S2_PS3_.num_agpr, 0
	.set _ZN9rocsparseL46csr2bsr_nnz_wavefront_per_row_multipass_kernelILj256ELj16ELj4EilEEvT3_S1_S1_S1_S1_21rocsparse_index_base_PKT2_PKS1_S2_PS3_.numbered_sgpr, 36
	.set _ZN9rocsparseL46csr2bsr_nnz_wavefront_per_row_multipass_kernelILj256ELj16ELj4EilEEvT3_S1_S1_S1_S1_21rocsparse_index_base_PKT2_PKS1_S2_PS3_.num_named_barrier, 0
	.set _ZN9rocsparseL46csr2bsr_nnz_wavefront_per_row_multipass_kernelILj256ELj16ELj4EilEEvT3_S1_S1_S1_S1_21rocsparse_index_base_PKT2_PKS1_S2_PS3_.private_seg_size, 0
	.set _ZN9rocsparseL46csr2bsr_nnz_wavefront_per_row_multipass_kernelILj256ELj16ELj4EilEEvT3_S1_S1_S1_S1_21rocsparse_index_base_PKT2_PKS1_S2_PS3_.uses_vcc, 1
	.set _ZN9rocsparseL46csr2bsr_nnz_wavefront_per_row_multipass_kernelILj256ELj16ELj4EilEEvT3_S1_S1_S1_S1_21rocsparse_index_base_PKT2_PKS1_S2_PS3_.uses_flat_scratch, 0
	.set _ZN9rocsparseL46csr2bsr_nnz_wavefront_per_row_multipass_kernelILj256ELj16ELj4EilEEvT3_S1_S1_S1_S1_21rocsparse_index_base_PKT2_PKS1_S2_PS3_.has_dyn_sized_stack, 0
	.set _ZN9rocsparseL46csr2bsr_nnz_wavefront_per_row_multipass_kernelILj256ELj16ELj4EilEEvT3_S1_S1_S1_S1_21rocsparse_index_base_PKT2_PKS1_S2_PS3_.has_recursion, 0
	.set _ZN9rocsparseL46csr2bsr_nnz_wavefront_per_row_multipass_kernelILj256ELj16ELj4EilEEvT3_S1_S1_S1_S1_21rocsparse_index_base_PKT2_PKS1_S2_PS3_.has_indirect_call, 0
	.section	.AMDGPU.csdata,"",@progbits
; Kernel info:
; codeLenInByte = 1688
; TotalNumSgprs: 40
; NumVgprs: 26
; ScratchSize: 0
; MemoryBound: 0
; FloatMode: 240
; IeeeMode: 1
; LDSByteSize: 144 bytes/workgroup (compile time only)
; SGPRBlocks: 4
; VGPRBlocks: 6
; NumSGPRsForWavesPerEU: 40
; NumVGPRsForWavesPerEU: 26
; Occupancy: 9
; WaveLimiterHint : 0
; COMPUTE_PGM_RSRC2:SCRATCH_EN: 0
; COMPUTE_PGM_RSRC2:USER_SGPR: 6
; COMPUTE_PGM_RSRC2:TRAP_HANDLER: 0
; COMPUTE_PGM_RSRC2:TGID_X_EN: 1
; COMPUTE_PGM_RSRC2:TGID_Y_EN: 0
; COMPUTE_PGM_RSRC2:TGID_Z_EN: 0
; COMPUTE_PGM_RSRC2:TIDIG_COMP_CNT: 0
	.section	.text._ZN9rocsparseL46csr2bsr_nnz_wavefront_per_row_multipass_kernelILj256ELj64ELj8EilEEvT3_S1_S1_S1_S1_21rocsparse_index_base_PKT2_PKS1_S2_PS3_,"axG",@progbits,_ZN9rocsparseL46csr2bsr_nnz_wavefront_per_row_multipass_kernelILj256ELj64ELj8EilEEvT3_S1_S1_S1_S1_21rocsparse_index_base_PKT2_PKS1_S2_PS3_,comdat
	.globl	_ZN9rocsparseL46csr2bsr_nnz_wavefront_per_row_multipass_kernelILj256ELj64ELj8EilEEvT3_S1_S1_S1_S1_21rocsparse_index_base_PKT2_PKS1_S2_PS3_ ; -- Begin function _ZN9rocsparseL46csr2bsr_nnz_wavefront_per_row_multipass_kernelILj256ELj64ELj8EilEEvT3_S1_S1_S1_S1_21rocsparse_index_base_PKT2_PKS1_S2_PS3_
	.p2align	8
	.type	_ZN9rocsparseL46csr2bsr_nnz_wavefront_per_row_multipass_kernelILj256ELj64ELj8EilEEvT3_S1_S1_S1_S1_21rocsparse_index_base_PKT2_PKS1_S2_PS3_,@function
_ZN9rocsparseL46csr2bsr_nnz_wavefront_per_row_multipass_kernelILj256ELj64ELj8EilEEvT3_S1_S1_S1_S1_21rocsparse_index_base_PKT2_PKS1_S2_PS3_: ; @_ZN9rocsparseL46csr2bsr_nnz_wavefront_per_row_multipass_kernelILj256ELj64ELj8EilEEvT3_S1_S1_S1_S1_21rocsparse_index_base_PKT2_PKS1_S2_PS3_
; %bb.0:
	s_load_dwordx2 s[12:13], s[4:5], 0x20
	s_load_dword s28, s[4:5], 0x28
	s_load_dwordx2 s[2:3], s[4:5], 0x30
	s_ashr_i32 s7, s6, 31
	v_lshrrev_b32_e32 v11, 6, v0
	s_lshl_b64 s[0:1], s[6:7], 2
	v_bfe_u32 v1, v0, 3, 3
	v_mov_b32_e32 v2, 0
	v_or_b32_e32 v3, s0, v11
	s_waitcnt lgkmcnt(0)
	v_mul_lo_u32 v5, v3, s13
	v_mad_u64_u32 v[3:4], s[8:9], v3, s12, v[1:2]
	s_load_dwordx2 s[14:15], s[4:5], 0x0
	s_load_dwordx4 s[8:11], s[4:5], 0x10
	s_mul_i32 s0, s1, s12
	v_add3_u32 v4, s0, v4, v5
	v_cmp_gt_i64_e64 s[0:1], s[12:13], v[1:2]
	s_waitcnt lgkmcnt(0)
	v_cmp_gt_i64_e32 vcc, s[14:15], v[3:4]
	v_lshlrev_b32_e32 v10, 3, v11
	v_mov_b32_e32 v5, v2
	v_mov_b32_e32 v6, v2
	s_and_b64 s[0:1], s[0:1], vcc
	v_mov_b32_e32 v1, 0
	ds_write_b64 v10, v[5:6]
	s_waitcnt lgkmcnt(0)
	s_barrier
	s_and_saveexec_b64 s[14:15], s[0:1]
	s_cbranch_execz .LBB25_2
; %bb.1:
	v_lshlrev_b64 v[5:6], 2, v[3:4]
	v_mov_b32_e32 v1, s3
	v_add_co_u32_e32 v5, vcc, s2, v5
	v_addc_co_u32_e32 v6, vcc, v1, v6, vcc
	global_load_dword v1, v[5:6], off
	s_waitcnt vmcnt(0)
	v_subrev_u32_e32 v1, s28, v1
.LBB25_2:
	s_or_b64 exec, exec, s[14:15]
	s_and_saveexec_b64 s[14:15], s[0:1]
	s_cbranch_execz .LBB25_4
; %bb.3:
	v_lshlrev_b64 v[2:3], 2, v[3:4]
	v_mov_b32_e32 v4, s3
	v_add_co_u32_e32 v2, vcc, s2, v2
	v_addc_co_u32_e32 v3, vcc, v4, v3, vcc
	global_load_dword v2, v[2:3], off offset:4
	s_waitcnt vmcnt(0)
	v_subrev_u32_e32 v2, s28, v2
.LBB25_4:
	s_or_b64 exec, exec, s[14:15]
	v_cmp_lt_i64_e64 s[0:1], s[10:11], 1
	v_and_b32_e32 v12, 63, v0
	s_and_b64 vcc, exec, s[0:1]
	v_cmp_eq_u32_e64 s[0:1], 0, v12
	s_cbranch_vccnz .LBB25_22
; %bb.5:
	s_load_dwordx2 s[14:15], s[4:5], 0x38
	v_and_b32_e32 v13, 7, v0
	v_mbcnt_lo_u32_b32 v0, -1, 0
	v_mbcnt_hi_u32_b32 v0, -1, v0
	v_lshlrev_b32_e32 v0, 2, v0
	v_mov_b32_e32 v5, 0
	v_or_b32_e32 v14, 28, v0
	v_or_b32_e32 v15, 0xfc, v0
	s_mov_b64 s[16:17], 0
	v_mov_b32_e32 v6, 0
	v_mov_b32_e32 v0, 0
	;; [unrolled: 1-line block ×3, first 2 shown]
	s_ashr_i32 s18, s13, 31
	s_branch .LBB25_7
.LBB25_6:                               ;   in Loop: Header=BB25_7 Depth=1
	s_or_b64 exec, exec, s[2:3]
	v_mov_b32_dpp v5, v3 row_shr:1 row_mask:0xf bank_mask:0xf
	v_mov_b32_dpp v6, v4 row_shr:1 row_mask:0xf bank_mask:0xf
	v_cmp_lt_i64_e32 vcc, v[5:6], v[3:4]
	s_waitcnt lgkmcnt(0)
	v_cndmask_b32_e32 v4, v4, v6, vcc
	v_cndmask_b32_e32 v3, v3, v5, vcc
	s_nop 0
	v_mov_b32_dpp v6, v4 row_shr:2 row_mask:0xf bank_mask:0xf
	v_mov_b32_dpp v5, v3 row_shr:2 row_mask:0xf bank_mask:0xf
	v_cmp_lt_i64_e32 vcc, v[5:6], v[3:4]
	v_cndmask_b32_e32 v4, v4, v6, vcc
	v_cndmask_b32_e32 v3, v3, v5, vcc
	s_nop 0
	v_mov_b32_dpp v6, v4 row_shr:4 row_mask:0xf bank_mask:0xe
	v_mov_b32_dpp v5, v3 row_shr:4 row_mask:0xf bank_mask:0xe
	v_cmp_lt_i64_e32 vcc, v[5:6], v[3:4]
	;; [unrolled: 6-line block ×3, first 2 shown]
	v_cndmask_b32_e32 v4, v4, v6, vcc
	v_cndmask_b32_e32 v3, v3, v5, vcc
	s_nop 0
	v_mov_b32_dpp v6, v4 row_bcast:15 row_mask:0xa bank_mask:0xf
	v_mov_b32_dpp v5, v3 row_bcast:15 row_mask:0xa bank_mask:0xf
	v_cmp_lt_i64_e32 vcc, v[5:6], v[3:4]
	v_cndmask_b32_e32 v4, v4, v6, vcc
	v_cndmask_b32_e32 v3, v3, v5, vcc
	s_nop 0
	v_mov_b32_dpp v6, v4 row_bcast:31 row_mask:0xc bank_mask:0xf
	v_mov_b32_dpp v5, v3 row_bcast:31 row_mask:0xc bank_mask:0xf
	v_cmp_lt_i64_e32 vcc, v[5:6], v[3:4]
	v_cndmask_b32_e32 v3, v3, v5, vcc
	ds_bpermute_b32 v5, v15, v3
	s_waitcnt lgkmcnt(0)
	v_ashrrev_i32_e32 v6, 31, v5
	v_cmp_le_i64_e32 vcc, s[10:11], v[5:6]
	s_or_b64 s[16:17], vcc, s[16:17]
	s_andn2_b64 exec, exec, s[16:17]
	s_cbranch_execz .LBB25_21
.LBB25_7:                               ; =>This Loop Header: Depth=1
                                        ;     Child Loop BB25_10 Depth 2
	v_add_u32_e32 v7, v1, v13
	v_mov_b32_e32 v3, s10
	v_cmp_lt_i32_e32 vcc, v7, v2
	v_mov_b32_e32 v4, s11
	v_mov_b32_e32 v1, v2
	ds_write_b8 v11, v0 offset:32
	s_waitcnt lgkmcnt(0)
	s_and_saveexec_b64 s[20:21], vcc
	s_cbranch_execz .LBB25_19
; %bb.8:                                ;   in Loop: Header=BB25_7 Depth=1
	v_mov_b32_e32 v3, s10
	s_mov_b64 s[22:23], 0
	v_mov_b32_e32 v4, s11
	v_mov_b32_e32 v17, v2
	s_branch .LBB25_10
.LBB25_9:                               ;   in Loop: Header=BB25_10 Depth=2
	s_or_b64 exec, exec, s[2:3]
	v_add_u32_e32 v7, 8, v7
	v_cmp_ge_i32_e64 s[2:3], v7, v2
	s_xor_b64 s[24:25], vcc, -1
	s_or_b64 s[2:3], s[24:25], s[2:3]
	s_and_b64 s[2:3], exec, s[2:3]
	s_or_b64 s[22:23], s[2:3], s[22:23]
	v_mov_b32_e32 v17, v1
	s_andn2_b64 exec, exec, s[22:23]
	s_cbranch_execz .LBB25_18
.LBB25_10:                              ;   Parent Loop BB25_7 Depth=1
                                        ; =>  This Inner Loop Header: Depth=2
	v_ashrrev_i32_e32 v8, 31, v7
	v_lshlrev_b64 v[8:9], 3, v[7:8]
	v_mov_b32_e32 v1, s15
	v_add_co_u32_e32 v8, vcc, s14, v8
	v_addc_co_u32_e32 v9, vcc, v1, v9, vcc
	global_load_dwordx2 v[8:9], v[8:9], off
	s_waitcnt vmcnt(0)
	v_subrev_co_u32_e32 v18, vcc, s28, v8
	v_subbrev_co_u32_e32 v19, vcc, 0, v9, vcc
	v_or_b32_e32 v1, s13, v19
	v_cmp_ne_u64_e32 vcc, 0, v[0:1]
                                        ; implicit-def: $vgpr8_vgpr9
	s_and_saveexec_b64 s[2:3], vcc
	s_xor_b64 s[24:25], exec, s[2:3]
	s_cbranch_execz .LBB25_12
; %bb.11:                               ;   in Loop: Header=BB25_10 Depth=2
	s_add_u32 s2, s12, s18
	s_mov_b32 s19, s18
	s_addc_u32 s3, s13, s18
	s_xor_b64 s[26:27], s[2:3], s[18:19]
	v_cvt_f32_u32_e32 v1, s26
	v_cvt_f32_u32_e32 v8, s27
	s_sub_u32 s7, 0, s26
	s_subb_u32 s19, 0, s27
	v_mac_f32_e32 v1, 0x4f800000, v8
	v_rcp_f32_e32 v1, v1
	v_mul_f32_e32 v1, 0x5f7ffffc, v1
	v_mul_f32_e32 v8, 0x2f800000, v1
	v_trunc_f32_e32 v8, v8
	v_mac_f32_e32 v1, 0xcf800000, v8
	v_cvt_u32_f32_e32 v8, v8
	v_cvt_u32_f32_e32 v1, v1
	v_readfirstlane_b32 s29, v8
	v_readfirstlane_b32 s2, v1
	s_mul_i32 s3, s7, s29
	s_mul_hi_u32 s31, s7, s2
	s_mul_i32 s30, s19, s2
	s_add_i32 s3, s31, s3
	s_add_i32 s3, s3, s30
	s_mul_i32 s33, s7, s2
	s_mul_i32 s31, s2, s3
	s_mul_hi_u32 s34, s2, s33
	s_mul_hi_u32 s30, s2, s3
	s_add_u32 s31, s34, s31
	s_addc_u32 s30, 0, s30
	s_mul_hi_u32 s35, s29, s33
	s_mul_i32 s33, s29, s33
	s_add_u32 s31, s31, s33
	s_mul_hi_u32 s34, s29, s3
	s_addc_u32 s30, s30, s35
	s_addc_u32 s31, s34, 0
	s_mul_i32 s3, s29, s3
	s_add_u32 s3, s30, s3
	s_addc_u32 s30, 0, s31
	s_add_u32 s31, s2, s3
	s_cselect_b64 s[2:3], -1, 0
	s_cmp_lg_u64 s[2:3], 0
	s_addc_u32 s29, s29, s30
	s_mul_i32 s2, s7, s29
	s_mul_hi_u32 s3, s7, s31
	s_add_i32 s2, s3, s2
	s_mul_i32 s19, s19, s31
	s_add_i32 s2, s2, s19
	s_mul_i32 s7, s7, s31
	s_mul_hi_u32 s19, s29, s7
	s_mul_i32 s30, s29, s7
	s_mul_i32 s34, s31, s2
	s_mul_hi_u32 s7, s31, s7
	s_mul_hi_u32 s33, s31, s2
	s_add_u32 s7, s7, s34
	s_addc_u32 s33, 0, s33
	s_add_u32 s7, s7, s30
	s_mul_hi_u32 s3, s29, s2
	s_addc_u32 s7, s33, s19
	s_addc_u32 s3, s3, 0
	s_mul_i32 s2, s29, s2
	s_add_u32 s2, s7, s2
	s_addc_u32 s7, 0, s3
	s_add_u32 s19, s31, s2
	s_cselect_b64 s[2:3], -1, 0
	v_ashrrev_i32_e32 v1, 31, v19
	s_cmp_lg_u64 s[2:3], 0
	v_add_co_u32_e32 v8, vcc, v18, v1
	s_addc_u32 s7, s29, s7
	v_xor_b32_e32 v20, v8, v1
	v_addc_co_u32_e32 v18, vcc, v19, v1, vcc
	v_mad_u64_u32 v[8:9], s[2:3], v20, s7, 0
	v_mul_hi_u32 v19, v20, s19
	v_xor_b32_e32 v21, v18, v1
	v_xor_b32_e32 v1, s18, v1
	v_add_co_u32_e32 v22, vcc, v19, v8
	v_addc_co_u32_e32 v23, vcc, 0, v9, vcc
	v_mad_u64_u32 v[8:9], s[2:3], v21, s19, 0
	v_mad_u64_u32 v[18:19], s[2:3], v21, s7, 0
	v_add_co_u32_e32 v8, vcc, v22, v8
	v_addc_co_u32_e32 v8, vcc, v23, v9, vcc
	v_addc_co_u32_e32 v9, vcc, 0, v19, vcc
	v_add_co_u32_e32 v18, vcc, v8, v18
	v_addc_co_u32_e32 v19, vcc, 0, v9, vcc
	v_mul_lo_u32 v22, s27, v18
	v_mul_lo_u32 v23, s26, v19
	v_mad_u64_u32 v[8:9], s[2:3], s26, v18, 0
	v_add3_u32 v9, v9, v23, v22
	v_sub_u32_e32 v22, v21, v9
	v_mov_b32_e32 v23, s27
	v_sub_co_u32_e32 v8, vcc, v20, v8
	v_subb_co_u32_e64 v20, s[2:3], v22, v23, vcc
	v_subrev_co_u32_e64 v22, s[2:3], s26, v8
	v_subbrev_co_u32_e64 v20, s[2:3], 0, v20, s[2:3]
	v_cmp_le_u32_e64 s[2:3], s27, v20
	v_cndmask_b32_e64 v23, 0, -1, s[2:3]
	v_cmp_le_u32_e64 s[2:3], s26, v22
	v_cndmask_b32_e64 v22, 0, -1, s[2:3]
	v_cmp_eq_u32_e64 s[2:3], s27, v20
	v_cndmask_b32_e64 v20, v23, v22, s[2:3]
	v_add_co_u32_e64 v22, s[2:3], 2, v18
	v_subb_co_u32_e32 v9, vcc, v21, v9, vcc
	v_addc_co_u32_e64 v23, s[2:3], 0, v19, s[2:3]
	v_cmp_le_u32_e32 vcc, s27, v9
	v_add_co_u32_e64 v24, s[2:3], 1, v18
	v_cndmask_b32_e64 v21, 0, -1, vcc
	v_cmp_le_u32_e32 vcc, s26, v8
	v_addc_co_u32_e64 v25, s[2:3], 0, v19, s[2:3]
	v_cndmask_b32_e64 v8, 0, -1, vcc
	v_cmp_eq_u32_e32 vcc, s27, v9
	v_cmp_ne_u32_e64 s[2:3], 0, v20
	v_cndmask_b32_e32 v8, v21, v8, vcc
	v_cndmask_b32_e64 v20, v25, v23, s[2:3]
	v_cmp_ne_u32_e32 vcc, 0, v8
	v_cndmask_b32_e64 v9, v24, v22, s[2:3]
	v_cndmask_b32_e32 v8, v19, v20, vcc
	v_cndmask_b32_e32 v9, v18, v9, vcc
	v_xor_b32_e32 v18, v8, v1
	v_xor_b32_e32 v8, v9, v1
	v_sub_co_u32_e32 v8, vcc, v8, v1
	v_subb_co_u32_e32 v9, vcc, v18, v1, vcc
                                        ; implicit-def: $vgpr18
.LBB25_12:                              ;   in Loop: Header=BB25_10 Depth=2
	s_andn2_saveexec_b64 s[2:3], s[24:25]
	s_cbranch_execz .LBB25_14
; %bb.13:                               ;   in Loop: Header=BB25_10 Depth=2
	v_cvt_f32_u32_e32 v1, s12
	s_sub_i32 s7, 0, s12
	v_rcp_iflag_f32_e32 v1, v1
	v_mul_f32_e32 v1, 0x4f7ffffe, v1
	v_cvt_u32_f32_e32 v1, v1
	v_mul_lo_u32 v8, s7, v1
	v_mul_hi_u32 v8, v1, v8
	v_add_u32_e32 v1, v1, v8
	v_mul_hi_u32 v1, v18, v1
	v_mul_lo_u32 v8, v1, s12
	v_add_u32_e32 v9, 1, v1
	v_sub_u32_e32 v8, v18, v8
	v_subrev_u32_e32 v18, s12, v8
	v_cmp_le_u32_e32 vcc, s12, v8
	v_cndmask_b32_e32 v8, v8, v18, vcc
	v_cndmask_b32_e32 v1, v1, v9, vcc
	v_add_u32_e32 v9, 1, v1
	v_cmp_le_u32_e32 vcc, s12, v8
	v_cndmask_b32_e32 v8, v1, v9, vcc
	v_mov_b32_e32 v9, v0
.LBB25_14:                              ;   in Loop: Header=BB25_10 Depth=2
	s_or_b64 exec, exec, s[2:3]
	v_cmp_eq_u64_e32 vcc, v[8:9], v[5:6]
	v_cmp_ne_u64_e64 s[2:3], v[8:9], v[5:6]
	s_and_saveexec_b64 s[24:25], s[2:3]
	s_xor_b64 s[24:25], exec, s[24:25]
; %bb.15:                               ;   in Loop: Header=BB25_10 Depth=2
	v_cmp_lt_i64_e64 s[2:3], v[8:9], v[3:4]
                                        ; implicit-def: $vgpr17
	v_cndmask_b32_e64 v4, v4, v9, s[2:3]
	v_cndmask_b32_e64 v3, v3, v8, s[2:3]
; %bb.16:                               ;   in Loop: Header=BB25_10 Depth=2
	s_or_saveexec_b64 s[2:3], s[24:25]
	v_mov_b32_e32 v1, v7
	s_xor_b64 exec, exec, s[2:3]
	s_cbranch_execz .LBB25_9
; %bb.17:                               ;   in Loop: Header=BB25_10 Depth=2
	v_mov_b32_e32 v1, v17
	ds_write_b8 v11, v16 offset:32
	s_branch .LBB25_9
.LBB25_18:                              ;   in Loop: Header=BB25_7 Depth=1
	s_or_b64 exec, exec, s[22:23]
.LBB25_19:                              ;   in Loop: Header=BB25_7 Depth=1
	s_or_b64 exec, exec, s[20:21]
	v_mov_b32_dpp v5, v1 row_shr:1 row_mask:0xf bank_mask:0xf
	v_min_i32_e32 v1, v5, v1
	s_waitcnt lgkmcnt(0)
	s_nop 0
	v_mov_b32_dpp v5, v1 row_shr:2 row_mask:0xf bank_mask:0xf
	v_min_i32_e32 v1, v5, v1
	ds_read_u8 v5, v11 offset:32
	s_waitcnt lgkmcnt(0)
	v_and_b32_e32 v5, 1, v5
	v_mov_b32_dpp v6, v1 row_shr:4 row_mask:0xf bank_mask:0xe
	v_min_i32_e32 v1, v6, v1
	ds_bpermute_b32 v1, v14, v1
	v_cmp_eq_u32_e32 vcc, 1, v5
	s_and_b64 s[20:21], s[0:1], vcc
	s_and_saveexec_b64 s[2:3], s[20:21]
	s_cbranch_execz .LBB25_6
; %bb.20:                               ;   in Loop: Header=BB25_7 Depth=1
	ds_read_b64 v[5:6], v10
	s_waitcnt lgkmcnt(0)
	v_add_co_u32_e32 v5, vcc, 1, v5
	v_addc_co_u32_e32 v6, vcc, 0, v6, vcc
	ds_write_b64 v10, v[5:6]
	s_branch .LBB25_6
.LBB25_21:
	s_or_b64 exec, exec, s[16:17]
.LBB25_22:
	v_cmp_eq_u32_e32 vcc, 0, v12
	s_and_saveexec_b64 s[0:1], vcc
	s_cbranch_execz .LBB25_25
; %bb.23:
	s_load_dword s2, s[4:5], 0x40
	s_load_dwordx2 s[0:1], s[4:5], 0x48
	v_mov_b32_e32 v1, 0
	v_lshl_or_b32 v0, s6, 2, v11
	v_cmp_gt_i64_e32 vcc, s[8:9], v[0:1]
	s_waitcnt lgkmcnt(0)
	v_mov_b32_e32 v2, s2
	global_store_dword v1, v2, s[0:1]
	s_and_b64 exec, exec, vcc
	s_cbranch_execz .LBB25_25
; %bb.24:
	v_add_u32_e32 v0, 1, v0
	ds_read_b32 v3, v10
	v_lshlrev_b64 v[0:1], 2, v[0:1]
	v_mov_b32_e32 v2, s1
	v_add_co_u32_e32 v0, vcc, s0, v0
	v_addc_co_u32_e32 v1, vcc, v2, v1, vcc
	s_waitcnt lgkmcnt(0)
	global_store_dword v[0:1], v3, off
.LBB25_25:
	s_endpgm
	.section	.rodata,"a",@progbits
	.p2align	6, 0x0
	.amdhsa_kernel _ZN9rocsparseL46csr2bsr_nnz_wavefront_per_row_multipass_kernelILj256ELj64ELj8EilEEvT3_S1_S1_S1_S1_21rocsparse_index_base_PKT2_PKS1_S2_PS3_
		.amdhsa_group_segment_fixed_size 40
		.amdhsa_private_segment_fixed_size 0
		.amdhsa_kernarg_size 80
		.amdhsa_user_sgpr_count 6
		.amdhsa_user_sgpr_private_segment_buffer 1
		.amdhsa_user_sgpr_dispatch_ptr 0
		.amdhsa_user_sgpr_queue_ptr 0
		.amdhsa_user_sgpr_kernarg_segment_ptr 1
		.amdhsa_user_sgpr_dispatch_id 0
		.amdhsa_user_sgpr_flat_scratch_init 0
		.amdhsa_user_sgpr_private_segment_size 0
		.amdhsa_uses_dynamic_stack 0
		.amdhsa_system_sgpr_private_segment_wavefront_offset 0
		.amdhsa_system_sgpr_workgroup_id_x 1
		.amdhsa_system_sgpr_workgroup_id_y 0
		.amdhsa_system_sgpr_workgroup_id_z 0
		.amdhsa_system_sgpr_workgroup_info 0
		.amdhsa_system_vgpr_workitem_id 0
		.amdhsa_next_free_vgpr 26
		.amdhsa_next_free_sgpr 36
		.amdhsa_reserve_vcc 1
		.amdhsa_reserve_flat_scratch 0
		.amdhsa_float_round_mode_32 0
		.amdhsa_float_round_mode_16_64 0
		.amdhsa_float_denorm_mode_32 3
		.amdhsa_float_denorm_mode_16_64 3
		.amdhsa_dx10_clamp 1
		.amdhsa_ieee_mode 1
		.amdhsa_fp16_overflow 0
		.amdhsa_exception_fp_ieee_invalid_op 0
		.amdhsa_exception_fp_denorm_src 0
		.amdhsa_exception_fp_ieee_div_zero 0
		.amdhsa_exception_fp_ieee_overflow 0
		.amdhsa_exception_fp_ieee_underflow 0
		.amdhsa_exception_fp_ieee_inexact 0
		.amdhsa_exception_int_div_zero 0
	.end_amdhsa_kernel
	.section	.text._ZN9rocsparseL46csr2bsr_nnz_wavefront_per_row_multipass_kernelILj256ELj64ELj8EilEEvT3_S1_S1_S1_S1_21rocsparse_index_base_PKT2_PKS1_S2_PS3_,"axG",@progbits,_ZN9rocsparseL46csr2bsr_nnz_wavefront_per_row_multipass_kernelILj256ELj64ELj8EilEEvT3_S1_S1_S1_S1_21rocsparse_index_base_PKT2_PKS1_S2_PS3_,comdat
.Lfunc_end25:
	.size	_ZN9rocsparseL46csr2bsr_nnz_wavefront_per_row_multipass_kernelILj256ELj64ELj8EilEEvT3_S1_S1_S1_S1_21rocsparse_index_base_PKT2_PKS1_S2_PS3_, .Lfunc_end25-_ZN9rocsparseL46csr2bsr_nnz_wavefront_per_row_multipass_kernelILj256ELj64ELj8EilEEvT3_S1_S1_S1_S1_21rocsparse_index_base_PKT2_PKS1_S2_PS3_
                                        ; -- End function
	.set _ZN9rocsparseL46csr2bsr_nnz_wavefront_per_row_multipass_kernelILj256ELj64ELj8EilEEvT3_S1_S1_S1_S1_21rocsparse_index_base_PKT2_PKS1_S2_PS3_.num_vgpr, 26
	.set _ZN9rocsparseL46csr2bsr_nnz_wavefront_per_row_multipass_kernelILj256ELj64ELj8EilEEvT3_S1_S1_S1_S1_21rocsparse_index_base_PKT2_PKS1_S2_PS3_.num_agpr, 0
	.set _ZN9rocsparseL46csr2bsr_nnz_wavefront_per_row_multipass_kernelILj256ELj64ELj8EilEEvT3_S1_S1_S1_S1_21rocsparse_index_base_PKT2_PKS1_S2_PS3_.numbered_sgpr, 36
	.set _ZN9rocsparseL46csr2bsr_nnz_wavefront_per_row_multipass_kernelILj256ELj64ELj8EilEEvT3_S1_S1_S1_S1_21rocsparse_index_base_PKT2_PKS1_S2_PS3_.num_named_barrier, 0
	.set _ZN9rocsparseL46csr2bsr_nnz_wavefront_per_row_multipass_kernelILj256ELj64ELj8EilEEvT3_S1_S1_S1_S1_21rocsparse_index_base_PKT2_PKS1_S2_PS3_.private_seg_size, 0
	.set _ZN9rocsparseL46csr2bsr_nnz_wavefront_per_row_multipass_kernelILj256ELj64ELj8EilEEvT3_S1_S1_S1_S1_21rocsparse_index_base_PKT2_PKS1_S2_PS3_.uses_vcc, 1
	.set _ZN9rocsparseL46csr2bsr_nnz_wavefront_per_row_multipass_kernelILj256ELj64ELj8EilEEvT3_S1_S1_S1_S1_21rocsparse_index_base_PKT2_PKS1_S2_PS3_.uses_flat_scratch, 0
	.set _ZN9rocsparseL46csr2bsr_nnz_wavefront_per_row_multipass_kernelILj256ELj64ELj8EilEEvT3_S1_S1_S1_S1_21rocsparse_index_base_PKT2_PKS1_S2_PS3_.has_dyn_sized_stack, 0
	.set _ZN9rocsparseL46csr2bsr_nnz_wavefront_per_row_multipass_kernelILj256ELj64ELj8EilEEvT3_S1_S1_S1_S1_21rocsparse_index_base_PKT2_PKS1_S2_PS3_.has_recursion, 0
	.set _ZN9rocsparseL46csr2bsr_nnz_wavefront_per_row_multipass_kernelILj256ELj64ELj8EilEEvT3_S1_S1_S1_S1_21rocsparse_index_base_PKT2_PKS1_S2_PS3_.has_indirect_call, 0
	.section	.AMDGPU.csdata,"",@progbits
; Kernel info:
; codeLenInByte = 1772
; TotalNumSgprs: 40
; NumVgprs: 26
; ScratchSize: 0
; MemoryBound: 0
; FloatMode: 240
; IeeeMode: 1
; LDSByteSize: 40 bytes/workgroup (compile time only)
; SGPRBlocks: 4
; VGPRBlocks: 6
; NumSGPRsForWavesPerEU: 40
; NumVGPRsForWavesPerEU: 26
; Occupancy: 9
; WaveLimiterHint : 0
; COMPUTE_PGM_RSRC2:SCRATCH_EN: 0
; COMPUTE_PGM_RSRC2:USER_SGPR: 6
; COMPUTE_PGM_RSRC2:TRAP_HANDLER: 0
; COMPUTE_PGM_RSRC2:TGID_X_EN: 1
; COMPUTE_PGM_RSRC2:TGID_Y_EN: 0
; COMPUTE_PGM_RSRC2:TGID_Z_EN: 0
; COMPUTE_PGM_RSRC2:TIDIG_COMP_CNT: 0
	.section	.text._ZN9rocsparseL46csr2bsr_nnz_wavefront_per_row_multipass_kernelILj256ELj32ELj8EilEEvT3_S1_S1_S1_S1_21rocsparse_index_base_PKT2_PKS1_S2_PS3_,"axG",@progbits,_ZN9rocsparseL46csr2bsr_nnz_wavefront_per_row_multipass_kernelILj256ELj32ELj8EilEEvT3_S1_S1_S1_S1_21rocsparse_index_base_PKT2_PKS1_S2_PS3_,comdat
	.globl	_ZN9rocsparseL46csr2bsr_nnz_wavefront_per_row_multipass_kernelILj256ELj32ELj8EilEEvT3_S1_S1_S1_S1_21rocsparse_index_base_PKT2_PKS1_S2_PS3_ ; -- Begin function _ZN9rocsparseL46csr2bsr_nnz_wavefront_per_row_multipass_kernelILj256ELj32ELj8EilEEvT3_S1_S1_S1_S1_21rocsparse_index_base_PKT2_PKS1_S2_PS3_
	.p2align	8
	.type	_ZN9rocsparseL46csr2bsr_nnz_wavefront_per_row_multipass_kernelILj256ELj32ELj8EilEEvT3_S1_S1_S1_S1_21rocsparse_index_base_PKT2_PKS1_S2_PS3_,@function
_ZN9rocsparseL46csr2bsr_nnz_wavefront_per_row_multipass_kernelILj256ELj32ELj8EilEEvT3_S1_S1_S1_S1_21rocsparse_index_base_PKT2_PKS1_S2_PS3_: ; @_ZN9rocsparseL46csr2bsr_nnz_wavefront_per_row_multipass_kernelILj256ELj32ELj8EilEEvT3_S1_S1_S1_S1_21rocsparse_index_base_PKT2_PKS1_S2_PS3_
; %bb.0:
	s_load_dwordx2 s[12:13], s[4:5], 0x20
	s_load_dword s28, s[4:5], 0x28
	s_load_dwordx2 s[2:3], s[4:5], 0x30
	s_ashr_i32 s7, s6, 31
	v_lshrrev_b32_e32 v11, 5, v0
	s_lshl_b64 s[0:1], s[6:7], 3
	v_bfe_u32 v1, v0, 2, 3
	v_mov_b32_e32 v2, 0
	v_or_b32_e32 v3, s0, v11
	s_waitcnt lgkmcnt(0)
	v_mul_lo_u32 v5, v3, s13
	v_mad_u64_u32 v[3:4], s[8:9], v3, s12, v[1:2]
	s_load_dwordx2 s[14:15], s[4:5], 0x0
	s_load_dwordx4 s[8:11], s[4:5], 0x10
	s_mul_i32 s0, s1, s12
	v_add3_u32 v4, s0, v4, v5
	v_cmp_gt_i64_e64 s[0:1], s[12:13], v[1:2]
	s_waitcnt lgkmcnt(0)
	v_cmp_gt_i64_e32 vcc, s[14:15], v[3:4]
	v_lshlrev_b32_e32 v10, 3, v11
	v_mov_b32_e32 v5, v2
	v_mov_b32_e32 v6, v2
	s_and_b64 s[0:1], s[0:1], vcc
	v_mov_b32_e32 v1, 0
	ds_write_b64 v10, v[5:6]
	s_waitcnt lgkmcnt(0)
	s_barrier
	s_and_saveexec_b64 s[14:15], s[0:1]
	s_cbranch_execz .LBB26_2
; %bb.1:
	v_lshlrev_b64 v[5:6], 2, v[3:4]
	v_mov_b32_e32 v1, s3
	v_add_co_u32_e32 v5, vcc, s2, v5
	v_addc_co_u32_e32 v6, vcc, v1, v6, vcc
	global_load_dword v1, v[5:6], off
	s_waitcnt vmcnt(0)
	v_subrev_u32_e32 v1, s28, v1
.LBB26_2:
	s_or_b64 exec, exec, s[14:15]
	s_and_saveexec_b64 s[14:15], s[0:1]
	s_cbranch_execz .LBB26_4
; %bb.3:
	v_lshlrev_b64 v[2:3], 2, v[3:4]
	v_mov_b32_e32 v4, s3
	v_add_co_u32_e32 v2, vcc, s2, v2
	v_addc_co_u32_e32 v3, vcc, v4, v3, vcc
	global_load_dword v2, v[2:3], off offset:4
	s_waitcnt vmcnt(0)
	v_subrev_u32_e32 v2, s28, v2
.LBB26_4:
	s_or_b64 exec, exec, s[14:15]
	v_cmp_lt_i64_e64 s[0:1], s[10:11], 1
	v_and_b32_e32 v12, 31, v0
	s_and_b64 vcc, exec, s[0:1]
	v_cmp_eq_u32_e64 s[0:1], 0, v12
	s_cbranch_vccnz .LBB26_22
; %bb.5:
	s_load_dwordx2 s[14:15], s[4:5], 0x38
	v_and_b32_e32 v13, 3, v0
	v_mbcnt_lo_u32_b32 v0, -1, 0
	v_mbcnt_hi_u32_b32 v0, -1, v0
	v_lshlrev_b32_e32 v0, 2, v0
	v_mov_b32_e32 v5, 0
	v_or_b32_e32 v14, 12, v0
	v_or_b32_e32 v15, 0x7c, v0
	s_mov_b64 s[16:17], 0
	v_mov_b32_e32 v6, 0
	v_mov_b32_e32 v0, 0
	;; [unrolled: 1-line block ×3, first 2 shown]
	s_ashr_i32 s18, s13, 31
	s_branch .LBB26_7
.LBB26_6:                               ;   in Loop: Header=BB26_7 Depth=1
	s_or_b64 exec, exec, s[2:3]
	v_mov_b32_dpp v5, v3 row_shr:1 row_mask:0xf bank_mask:0xf
	v_mov_b32_dpp v6, v4 row_shr:1 row_mask:0xf bank_mask:0xf
	v_cmp_lt_i64_e32 vcc, v[5:6], v[3:4]
	s_waitcnt lgkmcnt(0)
	v_cndmask_b32_e32 v4, v4, v6, vcc
	v_cndmask_b32_e32 v3, v3, v5, vcc
	s_nop 0
	v_mov_b32_dpp v6, v4 row_shr:2 row_mask:0xf bank_mask:0xf
	v_mov_b32_dpp v5, v3 row_shr:2 row_mask:0xf bank_mask:0xf
	v_cmp_lt_i64_e32 vcc, v[5:6], v[3:4]
	v_cndmask_b32_e32 v4, v4, v6, vcc
	v_cndmask_b32_e32 v3, v3, v5, vcc
	s_nop 0
	v_mov_b32_dpp v6, v4 row_shr:4 row_mask:0xf bank_mask:0xe
	v_mov_b32_dpp v5, v3 row_shr:4 row_mask:0xf bank_mask:0xe
	v_cmp_lt_i64_e32 vcc, v[5:6], v[3:4]
	;; [unrolled: 6-line block ×3, first 2 shown]
	v_cndmask_b32_e32 v4, v4, v6, vcc
	v_cndmask_b32_e32 v3, v3, v5, vcc
	s_nop 0
	v_mov_b32_dpp v6, v4 row_bcast:15 row_mask:0xa bank_mask:0xf
	v_mov_b32_dpp v5, v3 row_bcast:15 row_mask:0xa bank_mask:0xf
	v_cmp_lt_i64_e32 vcc, v[5:6], v[3:4]
	v_cndmask_b32_e32 v3, v3, v5, vcc
	ds_bpermute_b32 v5, v15, v3
	s_waitcnt lgkmcnt(0)
	v_ashrrev_i32_e32 v6, 31, v5
	v_cmp_le_i64_e32 vcc, s[10:11], v[5:6]
	s_or_b64 s[16:17], vcc, s[16:17]
	s_andn2_b64 exec, exec, s[16:17]
	s_cbranch_execz .LBB26_21
.LBB26_7:                               ; =>This Loop Header: Depth=1
                                        ;     Child Loop BB26_10 Depth 2
	v_add_u32_e32 v7, v1, v13
	v_mov_b32_e32 v3, s10
	v_cmp_lt_i32_e32 vcc, v7, v2
	v_mov_b32_e32 v4, s11
	v_mov_b32_e32 v1, v2
	ds_write_b8 v11, v0 offset:64
	s_waitcnt lgkmcnt(0)
	s_and_saveexec_b64 s[20:21], vcc
	s_cbranch_execz .LBB26_19
; %bb.8:                                ;   in Loop: Header=BB26_7 Depth=1
	v_mov_b32_e32 v3, s10
	s_mov_b64 s[22:23], 0
	v_mov_b32_e32 v4, s11
	v_mov_b32_e32 v17, v2
	s_branch .LBB26_10
.LBB26_9:                               ;   in Loop: Header=BB26_10 Depth=2
	s_or_b64 exec, exec, s[2:3]
	v_add_u32_e32 v7, 4, v7
	v_cmp_ge_i32_e64 s[2:3], v7, v2
	s_xor_b64 s[24:25], vcc, -1
	s_or_b64 s[2:3], s[24:25], s[2:3]
	s_and_b64 s[2:3], exec, s[2:3]
	s_or_b64 s[22:23], s[2:3], s[22:23]
	v_mov_b32_e32 v17, v1
	s_andn2_b64 exec, exec, s[22:23]
	s_cbranch_execz .LBB26_18
.LBB26_10:                              ;   Parent Loop BB26_7 Depth=1
                                        ; =>  This Inner Loop Header: Depth=2
	v_ashrrev_i32_e32 v8, 31, v7
	v_lshlrev_b64 v[8:9], 3, v[7:8]
	v_mov_b32_e32 v1, s15
	v_add_co_u32_e32 v8, vcc, s14, v8
	v_addc_co_u32_e32 v9, vcc, v1, v9, vcc
	global_load_dwordx2 v[8:9], v[8:9], off
	s_waitcnt vmcnt(0)
	v_subrev_co_u32_e32 v18, vcc, s28, v8
	v_subbrev_co_u32_e32 v19, vcc, 0, v9, vcc
	v_or_b32_e32 v1, s13, v19
	v_cmp_ne_u64_e32 vcc, 0, v[0:1]
                                        ; implicit-def: $vgpr8_vgpr9
	s_and_saveexec_b64 s[2:3], vcc
	s_xor_b64 s[24:25], exec, s[2:3]
	s_cbranch_execz .LBB26_12
; %bb.11:                               ;   in Loop: Header=BB26_10 Depth=2
	s_add_u32 s2, s12, s18
	s_mov_b32 s19, s18
	s_addc_u32 s3, s13, s18
	s_xor_b64 s[26:27], s[2:3], s[18:19]
	v_cvt_f32_u32_e32 v1, s26
	v_cvt_f32_u32_e32 v8, s27
	s_sub_u32 s7, 0, s26
	s_subb_u32 s19, 0, s27
	v_mac_f32_e32 v1, 0x4f800000, v8
	v_rcp_f32_e32 v1, v1
	v_mul_f32_e32 v1, 0x5f7ffffc, v1
	v_mul_f32_e32 v8, 0x2f800000, v1
	v_trunc_f32_e32 v8, v8
	v_mac_f32_e32 v1, 0xcf800000, v8
	v_cvt_u32_f32_e32 v8, v8
	v_cvt_u32_f32_e32 v1, v1
	v_readfirstlane_b32 s29, v8
	v_readfirstlane_b32 s2, v1
	s_mul_i32 s3, s7, s29
	s_mul_hi_u32 s31, s7, s2
	s_mul_i32 s30, s19, s2
	s_add_i32 s3, s31, s3
	s_add_i32 s3, s3, s30
	s_mul_i32 s33, s7, s2
	s_mul_i32 s31, s2, s3
	s_mul_hi_u32 s34, s2, s33
	s_mul_hi_u32 s30, s2, s3
	s_add_u32 s31, s34, s31
	s_addc_u32 s30, 0, s30
	s_mul_hi_u32 s35, s29, s33
	s_mul_i32 s33, s29, s33
	s_add_u32 s31, s31, s33
	s_mul_hi_u32 s34, s29, s3
	s_addc_u32 s30, s30, s35
	s_addc_u32 s31, s34, 0
	s_mul_i32 s3, s29, s3
	s_add_u32 s3, s30, s3
	s_addc_u32 s30, 0, s31
	s_add_u32 s31, s2, s3
	s_cselect_b64 s[2:3], -1, 0
	s_cmp_lg_u64 s[2:3], 0
	s_addc_u32 s29, s29, s30
	s_mul_i32 s2, s7, s29
	s_mul_hi_u32 s3, s7, s31
	s_add_i32 s2, s3, s2
	s_mul_i32 s19, s19, s31
	s_add_i32 s2, s2, s19
	s_mul_i32 s7, s7, s31
	s_mul_hi_u32 s19, s29, s7
	s_mul_i32 s30, s29, s7
	s_mul_i32 s34, s31, s2
	s_mul_hi_u32 s7, s31, s7
	s_mul_hi_u32 s33, s31, s2
	s_add_u32 s7, s7, s34
	s_addc_u32 s33, 0, s33
	s_add_u32 s7, s7, s30
	s_mul_hi_u32 s3, s29, s2
	s_addc_u32 s7, s33, s19
	s_addc_u32 s3, s3, 0
	s_mul_i32 s2, s29, s2
	s_add_u32 s2, s7, s2
	s_addc_u32 s7, 0, s3
	s_add_u32 s19, s31, s2
	s_cselect_b64 s[2:3], -1, 0
	v_ashrrev_i32_e32 v1, 31, v19
	s_cmp_lg_u64 s[2:3], 0
	v_add_co_u32_e32 v8, vcc, v18, v1
	s_addc_u32 s7, s29, s7
	v_xor_b32_e32 v20, v8, v1
	v_addc_co_u32_e32 v18, vcc, v19, v1, vcc
	v_mad_u64_u32 v[8:9], s[2:3], v20, s7, 0
	v_mul_hi_u32 v19, v20, s19
	v_xor_b32_e32 v21, v18, v1
	v_xor_b32_e32 v1, s18, v1
	v_add_co_u32_e32 v22, vcc, v19, v8
	v_addc_co_u32_e32 v23, vcc, 0, v9, vcc
	v_mad_u64_u32 v[8:9], s[2:3], v21, s19, 0
	v_mad_u64_u32 v[18:19], s[2:3], v21, s7, 0
	v_add_co_u32_e32 v8, vcc, v22, v8
	v_addc_co_u32_e32 v8, vcc, v23, v9, vcc
	v_addc_co_u32_e32 v9, vcc, 0, v19, vcc
	v_add_co_u32_e32 v18, vcc, v8, v18
	v_addc_co_u32_e32 v19, vcc, 0, v9, vcc
	v_mul_lo_u32 v22, s27, v18
	v_mul_lo_u32 v23, s26, v19
	v_mad_u64_u32 v[8:9], s[2:3], s26, v18, 0
	v_add3_u32 v9, v9, v23, v22
	v_sub_u32_e32 v22, v21, v9
	v_mov_b32_e32 v23, s27
	v_sub_co_u32_e32 v8, vcc, v20, v8
	v_subb_co_u32_e64 v20, s[2:3], v22, v23, vcc
	v_subrev_co_u32_e64 v22, s[2:3], s26, v8
	v_subbrev_co_u32_e64 v20, s[2:3], 0, v20, s[2:3]
	v_cmp_le_u32_e64 s[2:3], s27, v20
	v_cndmask_b32_e64 v23, 0, -1, s[2:3]
	v_cmp_le_u32_e64 s[2:3], s26, v22
	v_cndmask_b32_e64 v22, 0, -1, s[2:3]
	v_cmp_eq_u32_e64 s[2:3], s27, v20
	v_cndmask_b32_e64 v20, v23, v22, s[2:3]
	v_add_co_u32_e64 v22, s[2:3], 2, v18
	v_subb_co_u32_e32 v9, vcc, v21, v9, vcc
	v_addc_co_u32_e64 v23, s[2:3], 0, v19, s[2:3]
	v_cmp_le_u32_e32 vcc, s27, v9
	v_add_co_u32_e64 v24, s[2:3], 1, v18
	v_cndmask_b32_e64 v21, 0, -1, vcc
	v_cmp_le_u32_e32 vcc, s26, v8
	v_addc_co_u32_e64 v25, s[2:3], 0, v19, s[2:3]
	v_cndmask_b32_e64 v8, 0, -1, vcc
	v_cmp_eq_u32_e32 vcc, s27, v9
	v_cmp_ne_u32_e64 s[2:3], 0, v20
	v_cndmask_b32_e32 v8, v21, v8, vcc
	v_cndmask_b32_e64 v20, v25, v23, s[2:3]
	v_cmp_ne_u32_e32 vcc, 0, v8
	v_cndmask_b32_e64 v9, v24, v22, s[2:3]
	v_cndmask_b32_e32 v8, v19, v20, vcc
	v_cndmask_b32_e32 v9, v18, v9, vcc
	v_xor_b32_e32 v18, v8, v1
	v_xor_b32_e32 v8, v9, v1
	v_sub_co_u32_e32 v8, vcc, v8, v1
	v_subb_co_u32_e32 v9, vcc, v18, v1, vcc
                                        ; implicit-def: $vgpr18
.LBB26_12:                              ;   in Loop: Header=BB26_10 Depth=2
	s_andn2_saveexec_b64 s[2:3], s[24:25]
	s_cbranch_execz .LBB26_14
; %bb.13:                               ;   in Loop: Header=BB26_10 Depth=2
	v_cvt_f32_u32_e32 v1, s12
	s_sub_i32 s7, 0, s12
	v_rcp_iflag_f32_e32 v1, v1
	v_mul_f32_e32 v1, 0x4f7ffffe, v1
	v_cvt_u32_f32_e32 v1, v1
	v_mul_lo_u32 v8, s7, v1
	v_mul_hi_u32 v8, v1, v8
	v_add_u32_e32 v1, v1, v8
	v_mul_hi_u32 v1, v18, v1
	v_mul_lo_u32 v8, v1, s12
	v_add_u32_e32 v9, 1, v1
	v_sub_u32_e32 v8, v18, v8
	v_subrev_u32_e32 v18, s12, v8
	v_cmp_le_u32_e32 vcc, s12, v8
	v_cndmask_b32_e32 v8, v8, v18, vcc
	v_cndmask_b32_e32 v1, v1, v9, vcc
	v_add_u32_e32 v9, 1, v1
	v_cmp_le_u32_e32 vcc, s12, v8
	v_cndmask_b32_e32 v8, v1, v9, vcc
	v_mov_b32_e32 v9, v0
.LBB26_14:                              ;   in Loop: Header=BB26_10 Depth=2
	s_or_b64 exec, exec, s[2:3]
	v_cmp_eq_u64_e32 vcc, v[8:9], v[5:6]
	v_cmp_ne_u64_e64 s[2:3], v[8:9], v[5:6]
	s_and_saveexec_b64 s[24:25], s[2:3]
	s_xor_b64 s[24:25], exec, s[24:25]
; %bb.15:                               ;   in Loop: Header=BB26_10 Depth=2
	v_cmp_lt_i64_e64 s[2:3], v[8:9], v[3:4]
                                        ; implicit-def: $vgpr17
	v_cndmask_b32_e64 v4, v4, v9, s[2:3]
	v_cndmask_b32_e64 v3, v3, v8, s[2:3]
; %bb.16:                               ;   in Loop: Header=BB26_10 Depth=2
	s_or_saveexec_b64 s[2:3], s[24:25]
	v_mov_b32_e32 v1, v7
	s_xor_b64 exec, exec, s[2:3]
	s_cbranch_execz .LBB26_9
; %bb.17:                               ;   in Loop: Header=BB26_10 Depth=2
	v_mov_b32_e32 v1, v17
	ds_write_b8 v11, v16 offset:64
	s_branch .LBB26_9
.LBB26_18:                              ;   in Loop: Header=BB26_7 Depth=1
	s_or_b64 exec, exec, s[22:23]
.LBB26_19:                              ;   in Loop: Header=BB26_7 Depth=1
	s_or_b64 exec, exec, s[20:21]
	v_mov_b32_dpp v5, v1 row_shr:1 row_mask:0xf bank_mask:0xf
	s_waitcnt lgkmcnt(0)
	v_min_i32_e32 v1, v5, v1
	ds_read_u8 v5, v11 offset:64
	s_waitcnt lgkmcnt(0)
	v_and_b32_e32 v5, 1, v5
	v_mov_b32_dpp v6, v1 row_shr:2 row_mask:0xf bank_mask:0xf
	v_min_i32_e32 v1, v6, v1
	ds_bpermute_b32 v1, v14, v1
	v_cmp_eq_u32_e32 vcc, 1, v5
	s_and_b64 s[20:21], s[0:1], vcc
	s_and_saveexec_b64 s[2:3], s[20:21]
	s_cbranch_execz .LBB26_6
; %bb.20:                               ;   in Loop: Header=BB26_7 Depth=1
	ds_read_b64 v[5:6], v10
	s_waitcnt lgkmcnt(0)
	v_add_co_u32_e32 v5, vcc, 1, v5
	v_addc_co_u32_e32 v6, vcc, 0, v6, vcc
	ds_write_b64 v10, v[5:6]
	s_branch .LBB26_6
.LBB26_21:
	s_or_b64 exec, exec, s[16:17]
.LBB26_22:
	v_cmp_eq_u32_e32 vcc, 0, v12
	s_and_saveexec_b64 s[0:1], vcc
	s_cbranch_execz .LBB26_25
; %bb.23:
	s_load_dword s2, s[4:5], 0x40
	s_load_dwordx2 s[0:1], s[4:5], 0x48
	v_mov_b32_e32 v1, 0
	v_lshl_or_b32 v0, s6, 3, v11
	v_cmp_gt_i64_e32 vcc, s[8:9], v[0:1]
	s_waitcnt lgkmcnt(0)
	v_mov_b32_e32 v2, s2
	global_store_dword v1, v2, s[0:1]
	s_and_b64 exec, exec, vcc
	s_cbranch_execz .LBB26_25
; %bb.24:
	v_add_u32_e32 v0, 1, v0
	ds_read_b32 v3, v10
	v_lshlrev_b64 v[0:1], 2, v[0:1]
	v_mov_b32_e32 v2, s1
	v_add_co_u32_e32 v0, vcc, s0, v0
	v_addc_co_u32_e32 v1, vcc, v2, v1, vcc
	s_waitcnt lgkmcnt(0)
	global_store_dword v[0:1], v3, off
.LBB26_25:
	s_endpgm
	.section	.rodata,"a",@progbits
	.p2align	6, 0x0
	.amdhsa_kernel _ZN9rocsparseL46csr2bsr_nnz_wavefront_per_row_multipass_kernelILj256ELj32ELj8EilEEvT3_S1_S1_S1_S1_21rocsparse_index_base_PKT2_PKS1_S2_PS3_
		.amdhsa_group_segment_fixed_size 72
		.amdhsa_private_segment_fixed_size 0
		.amdhsa_kernarg_size 80
		.amdhsa_user_sgpr_count 6
		.amdhsa_user_sgpr_private_segment_buffer 1
		.amdhsa_user_sgpr_dispatch_ptr 0
		.amdhsa_user_sgpr_queue_ptr 0
		.amdhsa_user_sgpr_kernarg_segment_ptr 1
		.amdhsa_user_sgpr_dispatch_id 0
		.amdhsa_user_sgpr_flat_scratch_init 0
		.amdhsa_user_sgpr_private_segment_size 0
		.amdhsa_uses_dynamic_stack 0
		.amdhsa_system_sgpr_private_segment_wavefront_offset 0
		.amdhsa_system_sgpr_workgroup_id_x 1
		.amdhsa_system_sgpr_workgroup_id_y 0
		.amdhsa_system_sgpr_workgroup_id_z 0
		.amdhsa_system_sgpr_workgroup_info 0
		.amdhsa_system_vgpr_workitem_id 0
		.amdhsa_next_free_vgpr 26
		.amdhsa_next_free_sgpr 36
		.amdhsa_reserve_vcc 1
		.amdhsa_reserve_flat_scratch 0
		.amdhsa_float_round_mode_32 0
		.amdhsa_float_round_mode_16_64 0
		.amdhsa_float_denorm_mode_32 3
		.amdhsa_float_denorm_mode_16_64 3
		.amdhsa_dx10_clamp 1
		.amdhsa_ieee_mode 1
		.amdhsa_fp16_overflow 0
		.amdhsa_exception_fp_ieee_invalid_op 0
		.amdhsa_exception_fp_denorm_src 0
		.amdhsa_exception_fp_ieee_div_zero 0
		.amdhsa_exception_fp_ieee_overflow 0
		.amdhsa_exception_fp_ieee_underflow 0
		.amdhsa_exception_fp_ieee_inexact 0
		.amdhsa_exception_int_div_zero 0
	.end_amdhsa_kernel
	.section	.text._ZN9rocsparseL46csr2bsr_nnz_wavefront_per_row_multipass_kernelILj256ELj32ELj8EilEEvT3_S1_S1_S1_S1_21rocsparse_index_base_PKT2_PKS1_S2_PS3_,"axG",@progbits,_ZN9rocsparseL46csr2bsr_nnz_wavefront_per_row_multipass_kernelILj256ELj32ELj8EilEEvT3_S1_S1_S1_S1_21rocsparse_index_base_PKT2_PKS1_S2_PS3_,comdat
.Lfunc_end26:
	.size	_ZN9rocsparseL46csr2bsr_nnz_wavefront_per_row_multipass_kernelILj256ELj32ELj8EilEEvT3_S1_S1_S1_S1_21rocsparse_index_base_PKT2_PKS1_S2_PS3_, .Lfunc_end26-_ZN9rocsparseL46csr2bsr_nnz_wavefront_per_row_multipass_kernelILj256ELj32ELj8EilEEvT3_S1_S1_S1_S1_21rocsparse_index_base_PKT2_PKS1_S2_PS3_
                                        ; -- End function
	.set _ZN9rocsparseL46csr2bsr_nnz_wavefront_per_row_multipass_kernelILj256ELj32ELj8EilEEvT3_S1_S1_S1_S1_21rocsparse_index_base_PKT2_PKS1_S2_PS3_.num_vgpr, 26
	.set _ZN9rocsparseL46csr2bsr_nnz_wavefront_per_row_multipass_kernelILj256ELj32ELj8EilEEvT3_S1_S1_S1_S1_21rocsparse_index_base_PKT2_PKS1_S2_PS3_.num_agpr, 0
	.set _ZN9rocsparseL46csr2bsr_nnz_wavefront_per_row_multipass_kernelILj256ELj32ELj8EilEEvT3_S1_S1_S1_S1_21rocsparse_index_base_PKT2_PKS1_S2_PS3_.numbered_sgpr, 36
	.set _ZN9rocsparseL46csr2bsr_nnz_wavefront_per_row_multipass_kernelILj256ELj32ELj8EilEEvT3_S1_S1_S1_S1_21rocsparse_index_base_PKT2_PKS1_S2_PS3_.num_named_barrier, 0
	.set _ZN9rocsparseL46csr2bsr_nnz_wavefront_per_row_multipass_kernelILj256ELj32ELj8EilEEvT3_S1_S1_S1_S1_21rocsparse_index_base_PKT2_PKS1_S2_PS3_.private_seg_size, 0
	.set _ZN9rocsparseL46csr2bsr_nnz_wavefront_per_row_multipass_kernelILj256ELj32ELj8EilEEvT3_S1_S1_S1_S1_21rocsparse_index_base_PKT2_PKS1_S2_PS3_.uses_vcc, 1
	.set _ZN9rocsparseL46csr2bsr_nnz_wavefront_per_row_multipass_kernelILj256ELj32ELj8EilEEvT3_S1_S1_S1_S1_21rocsparse_index_base_PKT2_PKS1_S2_PS3_.uses_flat_scratch, 0
	.set _ZN9rocsparseL46csr2bsr_nnz_wavefront_per_row_multipass_kernelILj256ELj32ELj8EilEEvT3_S1_S1_S1_S1_21rocsparse_index_base_PKT2_PKS1_S2_PS3_.has_dyn_sized_stack, 0
	.set _ZN9rocsparseL46csr2bsr_nnz_wavefront_per_row_multipass_kernelILj256ELj32ELj8EilEEvT3_S1_S1_S1_S1_21rocsparse_index_base_PKT2_PKS1_S2_PS3_.has_recursion, 0
	.set _ZN9rocsparseL46csr2bsr_nnz_wavefront_per_row_multipass_kernelILj256ELj32ELj8EilEEvT3_S1_S1_S1_S1_21rocsparse_index_base_PKT2_PKS1_S2_PS3_.has_indirect_call, 0
	.section	.AMDGPU.csdata,"",@progbits
; Kernel info:
; codeLenInByte = 1724
; TotalNumSgprs: 40
; NumVgprs: 26
; ScratchSize: 0
; MemoryBound: 0
; FloatMode: 240
; IeeeMode: 1
; LDSByteSize: 72 bytes/workgroup (compile time only)
; SGPRBlocks: 4
; VGPRBlocks: 6
; NumSGPRsForWavesPerEU: 40
; NumVGPRsForWavesPerEU: 26
; Occupancy: 9
; WaveLimiterHint : 0
; COMPUTE_PGM_RSRC2:SCRATCH_EN: 0
; COMPUTE_PGM_RSRC2:USER_SGPR: 6
; COMPUTE_PGM_RSRC2:TRAP_HANDLER: 0
; COMPUTE_PGM_RSRC2:TGID_X_EN: 1
; COMPUTE_PGM_RSRC2:TGID_Y_EN: 0
; COMPUTE_PGM_RSRC2:TGID_Z_EN: 0
; COMPUTE_PGM_RSRC2:TIDIG_COMP_CNT: 0
	.section	.text._ZN9rocsparseL46csr2bsr_nnz_wavefront_per_row_multipass_kernelILj256ELj64ELj16EilEEvT3_S1_S1_S1_S1_21rocsparse_index_base_PKT2_PKS1_S2_PS3_,"axG",@progbits,_ZN9rocsparseL46csr2bsr_nnz_wavefront_per_row_multipass_kernelILj256ELj64ELj16EilEEvT3_S1_S1_S1_S1_21rocsparse_index_base_PKT2_PKS1_S2_PS3_,comdat
	.globl	_ZN9rocsparseL46csr2bsr_nnz_wavefront_per_row_multipass_kernelILj256ELj64ELj16EilEEvT3_S1_S1_S1_S1_21rocsparse_index_base_PKT2_PKS1_S2_PS3_ ; -- Begin function _ZN9rocsparseL46csr2bsr_nnz_wavefront_per_row_multipass_kernelILj256ELj64ELj16EilEEvT3_S1_S1_S1_S1_21rocsparse_index_base_PKT2_PKS1_S2_PS3_
	.p2align	8
	.type	_ZN9rocsparseL46csr2bsr_nnz_wavefront_per_row_multipass_kernelILj256ELj64ELj16EilEEvT3_S1_S1_S1_S1_21rocsparse_index_base_PKT2_PKS1_S2_PS3_,@function
_ZN9rocsparseL46csr2bsr_nnz_wavefront_per_row_multipass_kernelILj256ELj64ELj16EilEEvT3_S1_S1_S1_S1_21rocsparse_index_base_PKT2_PKS1_S2_PS3_: ; @_ZN9rocsparseL46csr2bsr_nnz_wavefront_per_row_multipass_kernelILj256ELj64ELj16EilEEvT3_S1_S1_S1_S1_21rocsparse_index_base_PKT2_PKS1_S2_PS3_
; %bb.0:
	s_load_dwordx2 s[12:13], s[4:5], 0x20
	s_load_dword s28, s[4:5], 0x28
	s_load_dwordx2 s[2:3], s[4:5], 0x30
	s_ashr_i32 s7, s6, 31
	v_lshrrev_b32_e32 v11, 6, v0
	s_lshl_b64 s[0:1], s[6:7], 2
	v_bfe_u32 v1, v0, 2, 4
	v_mov_b32_e32 v2, 0
	v_or_b32_e32 v3, s0, v11
	s_waitcnt lgkmcnt(0)
	v_mul_lo_u32 v5, v3, s13
	v_mad_u64_u32 v[3:4], s[8:9], v3, s12, v[1:2]
	s_load_dwordx2 s[14:15], s[4:5], 0x0
	s_load_dwordx4 s[8:11], s[4:5], 0x10
	s_mul_i32 s0, s1, s12
	v_add3_u32 v4, s0, v4, v5
	v_cmp_gt_i64_e64 s[0:1], s[12:13], v[1:2]
	s_waitcnt lgkmcnt(0)
	v_cmp_gt_i64_e32 vcc, s[14:15], v[3:4]
	v_lshlrev_b32_e32 v10, 3, v11
	v_mov_b32_e32 v5, v2
	v_mov_b32_e32 v6, v2
	s_and_b64 s[0:1], s[0:1], vcc
	v_mov_b32_e32 v1, 0
	ds_write_b64 v10, v[5:6]
	s_waitcnt lgkmcnt(0)
	s_barrier
	s_and_saveexec_b64 s[14:15], s[0:1]
	s_cbranch_execz .LBB27_2
; %bb.1:
	v_lshlrev_b64 v[5:6], 2, v[3:4]
	v_mov_b32_e32 v1, s3
	v_add_co_u32_e32 v5, vcc, s2, v5
	v_addc_co_u32_e32 v6, vcc, v1, v6, vcc
	global_load_dword v1, v[5:6], off
	s_waitcnt vmcnt(0)
	v_subrev_u32_e32 v1, s28, v1
.LBB27_2:
	s_or_b64 exec, exec, s[14:15]
	s_and_saveexec_b64 s[14:15], s[0:1]
	s_cbranch_execz .LBB27_4
; %bb.3:
	v_lshlrev_b64 v[2:3], 2, v[3:4]
	v_mov_b32_e32 v4, s3
	v_add_co_u32_e32 v2, vcc, s2, v2
	v_addc_co_u32_e32 v3, vcc, v4, v3, vcc
	global_load_dword v2, v[2:3], off offset:4
	s_waitcnt vmcnt(0)
	v_subrev_u32_e32 v2, s28, v2
.LBB27_4:
	s_or_b64 exec, exec, s[14:15]
	v_cmp_lt_i64_e64 s[0:1], s[10:11], 1
	v_and_b32_e32 v12, 63, v0
	s_and_b64 vcc, exec, s[0:1]
	v_cmp_eq_u32_e64 s[0:1], 0, v12
	s_cbranch_vccnz .LBB27_22
; %bb.5:
	s_load_dwordx2 s[14:15], s[4:5], 0x38
	v_and_b32_e32 v13, 3, v0
	v_mbcnt_lo_u32_b32 v0, -1, 0
	v_mbcnt_hi_u32_b32 v0, -1, v0
	v_lshlrev_b32_e32 v0, 2, v0
	v_mov_b32_e32 v5, 0
	v_or_b32_e32 v14, 12, v0
	v_or_b32_e32 v15, 0xfc, v0
	s_mov_b64 s[16:17], 0
	v_mov_b32_e32 v6, 0
	v_mov_b32_e32 v0, 0
	;; [unrolled: 1-line block ×3, first 2 shown]
	s_ashr_i32 s18, s13, 31
	s_branch .LBB27_7
.LBB27_6:                               ;   in Loop: Header=BB27_7 Depth=1
	s_or_b64 exec, exec, s[2:3]
	v_mov_b32_dpp v5, v3 row_shr:1 row_mask:0xf bank_mask:0xf
	v_mov_b32_dpp v6, v4 row_shr:1 row_mask:0xf bank_mask:0xf
	v_cmp_lt_i64_e32 vcc, v[5:6], v[3:4]
	s_waitcnt lgkmcnt(0)
	v_cndmask_b32_e32 v4, v4, v6, vcc
	v_cndmask_b32_e32 v3, v3, v5, vcc
	s_nop 0
	v_mov_b32_dpp v6, v4 row_shr:2 row_mask:0xf bank_mask:0xf
	v_mov_b32_dpp v5, v3 row_shr:2 row_mask:0xf bank_mask:0xf
	v_cmp_lt_i64_e32 vcc, v[5:6], v[3:4]
	v_cndmask_b32_e32 v4, v4, v6, vcc
	v_cndmask_b32_e32 v3, v3, v5, vcc
	s_nop 0
	v_mov_b32_dpp v6, v4 row_shr:4 row_mask:0xf bank_mask:0xe
	v_mov_b32_dpp v5, v3 row_shr:4 row_mask:0xf bank_mask:0xe
	v_cmp_lt_i64_e32 vcc, v[5:6], v[3:4]
	;; [unrolled: 6-line block ×3, first 2 shown]
	v_cndmask_b32_e32 v4, v4, v6, vcc
	v_cndmask_b32_e32 v3, v3, v5, vcc
	s_nop 0
	v_mov_b32_dpp v6, v4 row_bcast:15 row_mask:0xa bank_mask:0xf
	v_mov_b32_dpp v5, v3 row_bcast:15 row_mask:0xa bank_mask:0xf
	v_cmp_lt_i64_e32 vcc, v[5:6], v[3:4]
	v_cndmask_b32_e32 v4, v4, v6, vcc
	v_cndmask_b32_e32 v3, v3, v5, vcc
	s_nop 0
	v_mov_b32_dpp v6, v4 row_bcast:31 row_mask:0xc bank_mask:0xf
	v_mov_b32_dpp v5, v3 row_bcast:31 row_mask:0xc bank_mask:0xf
	v_cmp_lt_i64_e32 vcc, v[5:6], v[3:4]
	v_cndmask_b32_e32 v3, v3, v5, vcc
	ds_bpermute_b32 v5, v15, v3
	s_waitcnt lgkmcnt(0)
	v_ashrrev_i32_e32 v6, 31, v5
	v_cmp_le_i64_e32 vcc, s[10:11], v[5:6]
	s_or_b64 s[16:17], vcc, s[16:17]
	s_andn2_b64 exec, exec, s[16:17]
	s_cbranch_execz .LBB27_21
.LBB27_7:                               ; =>This Loop Header: Depth=1
                                        ;     Child Loop BB27_10 Depth 2
	v_add_u32_e32 v7, v1, v13
	v_mov_b32_e32 v3, s10
	v_cmp_lt_i32_e32 vcc, v7, v2
	v_mov_b32_e32 v4, s11
	v_mov_b32_e32 v1, v2
	ds_write_b8 v11, v0 offset:32
	s_waitcnt lgkmcnt(0)
	s_and_saveexec_b64 s[20:21], vcc
	s_cbranch_execz .LBB27_19
; %bb.8:                                ;   in Loop: Header=BB27_7 Depth=1
	v_mov_b32_e32 v3, s10
	s_mov_b64 s[22:23], 0
	v_mov_b32_e32 v4, s11
	v_mov_b32_e32 v17, v2
	s_branch .LBB27_10
.LBB27_9:                               ;   in Loop: Header=BB27_10 Depth=2
	s_or_b64 exec, exec, s[2:3]
	v_add_u32_e32 v7, 4, v7
	v_cmp_ge_i32_e64 s[2:3], v7, v2
	s_xor_b64 s[24:25], vcc, -1
	s_or_b64 s[2:3], s[24:25], s[2:3]
	s_and_b64 s[2:3], exec, s[2:3]
	s_or_b64 s[22:23], s[2:3], s[22:23]
	v_mov_b32_e32 v17, v1
	s_andn2_b64 exec, exec, s[22:23]
	s_cbranch_execz .LBB27_18
.LBB27_10:                              ;   Parent Loop BB27_7 Depth=1
                                        ; =>  This Inner Loop Header: Depth=2
	v_ashrrev_i32_e32 v8, 31, v7
	v_lshlrev_b64 v[8:9], 3, v[7:8]
	v_mov_b32_e32 v1, s15
	v_add_co_u32_e32 v8, vcc, s14, v8
	v_addc_co_u32_e32 v9, vcc, v1, v9, vcc
	global_load_dwordx2 v[8:9], v[8:9], off
	s_waitcnt vmcnt(0)
	v_subrev_co_u32_e32 v18, vcc, s28, v8
	v_subbrev_co_u32_e32 v19, vcc, 0, v9, vcc
	v_or_b32_e32 v1, s13, v19
	v_cmp_ne_u64_e32 vcc, 0, v[0:1]
                                        ; implicit-def: $vgpr8_vgpr9
	s_and_saveexec_b64 s[2:3], vcc
	s_xor_b64 s[24:25], exec, s[2:3]
	s_cbranch_execz .LBB27_12
; %bb.11:                               ;   in Loop: Header=BB27_10 Depth=2
	s_add_u32 s2, s12, s18
	s_mov_b32 s19, s18
	s_addc_u32 s3, s13, s18
	s_xor_b64 s[26:27], s[2:3], s[18:19]
	v_cvt_f32_u32_e32 v1, s26
	v_cvt_f32_u32_e32 v8, s27
	s_sub_u32 s7, 0, s26
	s_subb_u32 s19, 0, s27
	v_mac_f32_e32 v1, 0x4f800000, v8
	v_rcp_f32_e32 v1, v1
	v_mul_f32_e32 v1, 0x5f7ffffc, v1
	v_mul_f32_e32 v8, 0x2f800000, v1
	v_trunc_f32_e32 v8, v8
	v_mac_f32_e32 v1, 0xcf800000, v8
	v_cvt_u32_f32_e32 v8, v8
	v_cvt_u32_f32_e32 v1, v1
	v_readfirstlane_b32 s29, v8
	v_readfirstlane_b32 s2, v1
	s_mul_i32 s3, s7, s29
	s_mul_hi_u32 s31, s7, s2
	s_mul_i32 s30, s19, s2
	s_add_i32 s3, s31, s3
	s_add_i32 s3, s3, s30
	s_mul_i32 s33, s7, s2
	s_mul_i32 s31, s2, s3
	s_mul_hi_u32 s34, s2, s33
	s_mul_hi_u32 s30, s2, s3
	s_add_u32 s31, s34, s31
	s_addc_u32 s30, 0, s30
	s_mul_hi_u32 s35, s29, s33
	s_mul_i32 s33, s29, s33
	s_add_u32 s31, s31, s33
	s_mul_hi_u32 s34, s29, s3
	s_addc_u32 s30, s30, s35
	s_addc_u32 s31, s34, 0
	s_mul_i32 s3, s29, s3
	s_add_u32 s3, s30, s3
	s_addc_u32 s30, 0, s31
	s_add_u32 s31, s2, s3
	s_cselect_b64 s[2:3], -1, 0
	s_cmp_lg_u64 s[2:3], 0
	s_addc_u32 s29, s29, s30
	s_mul_i32 s2, s7, s29
	s_mul_hi_u32 s3, s7, s31
	s_add_i32 s2, s3, s2
	s_mul_i32 s19, s19, s31
	s_add_i32 s2, s2, s19
	s_mul_i32 s7, s7, s31
	s_mul_hi_u32 s19, s29, s7
	s_mul_i32 s30, s29, s7
	s_mul_i32 s34, s31, s2
	s_mul_hi_u32 s7, s31, s7
	s_mul_hi_u32 s33, s31, s2
	s_add_u32 s7, s7, s34
	s_addc_u32 s33, 0, s33
	s_add_u32 s7, s7, s30
	s_mul_hi_u32 s3, s29, s2
	s_addc_u32 s7, s33, s19
	s_addc_u32 s3, s3, 0
	s_mul_i32 s2, s29, s2
	s_add_u32 s2, s7, s2
	s_addc_u32 s7, 0, s3
	s_add_u32 s19, s31, s2
	s_cselect_b64 s[2:3], -1, 0
	v_ashrrev_i32_e32 v1, 31, v19
	s_cmp_lg_u64 s[2:3], 0
	v_add_co_u32_e32 v8, vcc, v18, v1
	s_addc_u32 s7, s29, s7
	v_xor_b32_e32 v20, v8, v1
	v_addc_co_u32_e32 v18, vcc, v19, v1, vcc
	v_mad_u64_u32 v[8:9], s[2:3], v20, s7, 0
	v_mul_hi_u32 v19, v20, s19
	v_xor_b32_e32 v21, v18, v1
	v_xor_b32_e32 v1, s18, v1
	v_add_co_u32_e32 v22, vcc, v19, v8
	v_addc_co_u32_e32 v23, vcc, 0, v9, vcc
	v_mad_u64_u32 v[8:9], s[2:3], v21, s19, 0
	v_mad_u64_u32 v[18:19], s[2:3], v21, s7, 0
	v_add_co_u32_e32 v8, vcc, v22, v8
	v_addc_co_u32_e32 v8, vcc, v23, v9, vcc
	v_addc_co_u32_e32 v9, vcc, 0, v19, vcc
	v_add_co_u32_e32 v18, vcc, v8, v18
	v_addc_co_u32_e32 v19, vcc, 0, v9, vcc
	v_mul_lo_u32 v22, s27, v18
	v_mul_lo_u32 v23, s26, v19
	v_mad_u64_u32 v[8:9], s[2:3], s26, v18, 0
	v_add3_u32 v9, v9, v23, v22
	v_sub_u32_e32 v22, v21, v9
	v_mov_b32_e32 v23, s27
	v_sub_co_u32_e32 v8, vcc, v20, v8
	v_subb_co_u32_e64 v20, s[2:3], v22, v23, vcc
	v_subrev_co_u32_e64 v22, s[2:3], s26, v8
	v_subbrev_co_u32_e64 v20, s[2:3], 0, v20, s[2:3]
	v_cmp_le_u32_e64 s[2:3], s27, v20
	v_cndmask_b32_e64 v23, 0, -1, s[2:3]
	v_cmp_le_u32_e64 s[2:3], s26, v22
	v_cndmask_b32_e64 v22, 0, -1, s[2:3]
	v_cmp_eq_u32_e64 s[2:3], s27, v20
	v_cndmask_b32_e64 v20, v23, v22, s[2:3]
	v_add_co_u32_e64 v22, s[2:3], 2, v18
	v_subb_co_u32_e32 v9, vcc, v21, v9, vcc
	v_addc_co_u32_e64 v23, s[2:3], 0, v19, s[2:3]
	v_cmp_le_u32_e32 vcc, s27, v9
	v_add_co_u32_e64 v24, s[2:3], 1, v18
	v_cndmask_b32_e64 v21, 0, -1, vcc
	v_cmp_le_u32_e32 vcc, s26, v8
	v_addc_co_u32_e64 v25, s[2:3], 0, v19, s[2:3]
	v_cndmask_b32_e64 v8, 0, -1, vcc
	v_cmp_eq_u32_e32 vcc, s27, v9
	v_cmp_ne_u32_e64 s[2:3], 0, v20
	v_cndmask_b32_e32 v8, v21, v8, vcc
	v_cndmask_b32_e64 v20, v25, v23, s[2:3]
	v_cmp_ne_u32_e32 vcc, 0, v8
	v_cndmask_b32_e64 v9, v24, v22, s[2:3]
	v_cndmask_b32_e32 v8, v19, v20, vcc
	v_cndmask_b32_e32 v9, v18, v9, vcc
	v_xor_b32_e32 v18, v8, v1
	v_xor_b32_e32 v8, v9, v1
	v_sub_co_u32_e32 v8, vcc, v8, v1
	v_subb_co_u32_e32 v9, vcc, v18, v1, vcc
                                        ; implicit-def: $vgpr18
.LBB27_12:                              ;   in Loop: Header=BB27_10 Depth=2
	s_andn2_saveexec_b64 s[2:3], s[24:25]
	s_cbranch_execz .LBB27_14
; %bb.13:                               ;   in Loop: Header=BB27_10 Depth=2
	v_cvt_f32_u32_e32 v1, s12
	s_sub_i32 s7, 0, s12
	v_rcp_iflag_f32_e32 v1, v1
	v_mul_f32_e32 v1, 0x4f7ffffe, v1
	v_cvt_u32_f32_e32 v1, v1
	v_mul_lo_u32 v8, s7, v1
	v_mul_hi_u32 v8, v1, v8
	v_add_u32_e32 v1, v1, v8
	v_mul_hi_u32 v1, v18, v1
	v_mul_lo_u32 v8, v1, s12
	v_add_u32_e32 v9, 1, v1
	v_sub_u32_e32 v8, v18, v8
	v_subrev_u32_e32 v18, s12, v8
	v_cmp_le_u32_e32 vcc, s12, v8
	v_cndmask_b32_e32 v8, v8, v18, vcc
	v_cndmask_b32_e32 v1, v1, v9, vcc
	v_add_u32_e32 v9, 1, v1
	v_cmp_le_u32_e32 vcc, s12, v8
	v_cndmask_b32_e32 v8, v1, v9, vcc
	v_mov_b32_e32 v9, v0
.LBB27_14:                              ;   in Loop: Header=BB27_10 Depth=2
	s_or_b64 exec, exec, s[2:3]
	v_cmp_eq_u64_e32 vcc, v[8:9], v[5:6]
	v_cmp_ne_u64_e64 s[2:3], v[8:9], v[5:6]
	s_and_saveexec_b64 s[24:25], s[2:3]
	s_xor_b64 s[24:25], exec, s[24:25]
; %bb.15:                               ;   in Loop: Header=BB27_10 Depth=2
	v_cmp_lt_i64_e64 s[2:3], v[8:9], v[3:4]
                                        ; implicit-def: $vgpr17
	v_cndmask_b32_e64 v4, v4, v9, s[2:3]
	v_cndmask_b32_e64 v3, v3, v8, s[2:3]
; %bb.16:                               ;   in Loop: Header=BB27_10 Depth=2
	s_or_saveexec_b64 s[2:3], s[24:25]
	v_mov_b32_e32 v1, v7
	s_xor_b64 exec, exec, s[2:3]
	s_cbranch_execz .LBB27_9
; %bb.17:                               ;   in Loop: Header=BB27_10 Depth=2
	v_mov_b32_e32 v1, v17
	ds_write_b8 v11, v16 offset:32
	s_branch .LBB27_9
.LBB27_18:                              ;   in Loop: Header=BB27_7 Depth=1
	s_or_b64 exec, exec, s[22:23]
.LBB27_19:                              ;   in Loop: Header=BB27_7 Depth=1
	s_or_b64 exec, exec, s[20:21]
	v_mov_b32_dpp v5, v1 row_shr:1 row_mask:0xf bank_mask:0xf
	s_waitcnt lgkmcnt(0)
	v_min_i32_e32 v1, v5, v1
	ds_read_u8 v5, v11 offset:32
	s_waitcnt lgkmcnt(0)
	v_and_b32_e32 v5, 1, v5
	v_mov_b32_dpp v6, v1 row_shr:2 row_mask:0xf bank_mask:0xf
	v_min_i32_e32 v1, v6, v1
	ds_bpermute_b32 v1, v14, v1
	v_cmp_eq_u32_e32 vcc, 1, v5
	s_and_b64 s[20:21], s[0:1], vcc
	s_and_saveexec_b64 s[2:3], s[20:21]
	s_cbranch_execz .LBB27_6
; %bb.20:                               ;   in Loop: Header=BB27_7 Depth=1
	ds_read_b64 v[5:6], v10
	s_waitcnt lgkmcnt(0)
	v_add_co_u32_e32 v5, vcc, 1, v5
	v_addc_co_u32_e32 v6, vcc, 0, v6, vcc
	ds_write_b64 v10, v[5:6]
	s_branch .LBB27_6
.LBB27_21:
	s_or_b64 exec, exec, s[16:17]
.LBB27_22:
	v_cmp_eq_u32_e32 vcc, 0, v12
	s_and_saveexec_b64 s[0:1], vcc
	s_cbranch_execz .LBB27_25
; %bb.23:
	s_load_dword s2, s[4:5], 0x40
	s_load_dwordx2 s[0:1], s[4:5], 0x48
	v_mov_b32_e32 v1, 0
	v_lshl_or_b32 v0, s6, 2, v11
	v_cmp_gt_i64_e32 vcc, s[8:9], v[0:1]
	s_waitcnt lgkmcnt(0)
	v_mov_b32_e32 v2, s2
	global_store_dword v1, v2, s[0:1]
	s_and_b64 exec, exec, vcc
	s_cbranch_execz .LBB27_25
; %bb.24:
	v_add_u32_e32 v0, 1, v0
	ds_read_b32 v3, v10
	v_lshlrev_b64 v[0:1], 2, v[0:1]
	v_mov_b32_e32 v2, s1
	v_add_co_u32_e32 v0, vcc, s0, v0
	v_addc_co_u32_e32 v1, vcc, v2, v1, vcc
	s_waitcnt lgkmcnt(0)
	global_store_dword v[0:1], v3, off
.LBB27_25:
	s_endpgm
	.section	.rodata,"a",@progbits
	.p2align	6, 0x0
	.amdhsa_kernel _ZN9rocsparseL46csr2bsr_nnz_wavefront_per_row_multipass_kernelILj256ELj64ELj16EilEEvT3_S1_S1_S1_S1_21rocsparse_index_base_PKT2_PKS1_S2_PS3_
		.amdhsa_group_segment_fixed_size 40
		.amdhsa_private_segment_fixed_size 0
		.amdhsa_kernarg_size 80
		.amdhsa_user_sgpr_count 6
		.amdhsa_user_sgpr_private_segment_buffer 1
		.amdhsa_user_sgpr_dispatch_ptr 0
		.amdhsa_user_sgpr_queue_ptr 0
		.amdhsa_user_sgpr_kernarg_segment_ptr 1
		.amdhsa_user_sgpr_dispatch_id 0
		.amdhsa_user_sgpr_flat_scratch_init 0
		.amdhsa_user_sgpr_private_segment_size 0
		.amdhsa_uses_dynamic_stack 0
		.amdhsa_system_sgpr_private_segment_wavefront_offset 0
		.amdhsa_system_sgpr_workgroup_id_x 1
		.amdhsa_system_sgpr_workgroup_id_y 0
		.amdhsa_system_sgpr_workgroup_id_z 0
		.amdhsa_system_sgpr_workgroup_info 0
		.amdhsa_system_vgpr_workitem_id 0
		.amdhsa_next_free_vgpr 26
		.amdhsa_next_free_sgpr 36
		.amdhsa_reserve_vcc 1
		.amdhsa_reserve_flat_scratch 0
		.amdhsa_float_round_mode_32 0
		.amdhsa_float_round_mode_16_64 0
		.amdhsa_float_denorm_mode_32 3
		.amdhsa_float_denorm_mode_16_64 3
		.amdhsa_dx10_clamp 1
		.amdhsa_ieee_mode 1
		.amdhsa_fp16_overflow 0
		.amdhsa_exception_fp_ieee_invalid_op 0
		.amdhsa_exception_fp_denorm_src 0
		.amdhsa_exception_fp_ieee_div_zero 0
		.amdhsa_exception_fp_ieee_overflow 0
		.amdhsa_exception_fp_ieee_underflow 0
		.amdhsa_exception_fp_ieee_inexact 0
		.amdhsa_exception_int_div_zero 0
	.end_amdhsa_kernel
	.section	.text._ZN9rocsparseL46csr2bsr_nnz_wavefront_per_row_multipass_kernelILj256ELj64ELj16EilEEvT3_S1_S1_S1_S1_21rocsparse_index_base_PKT2_PKS1_S2_PS3_,"axG",@progbits,_ZN9rocsparseL46csr2bsr_nnz_wavefront_per_row_multipass_kernelILj256ELj64ELj16EilEEvT3_S1_S1_S1_S1_21rocsparse_index_base_PKT2_PKS1_S2_PS3_,comdat
.Lfunc_end27:
	.size	_ZN9rocsparseL46csr2bsr_nnz_wavefront_per_row_multipass_kernelILj256ELj64ELj16EilEEvT3_S1_S1_S1_S1_21rocsparse_index_base_PKT2_PKS1_S2_PS3_, .Lfunc_end27-_ZN9rocsparseL46csr2bsr_nnz_wavefront_per_row_multipass_kernelILj256ELj64ELj16EilEEvT3_S1_S1_S1_S1_21rocsparse_index_base_PKT2_PKS1_S2_PS3_
                                        ; -- End function
	.set _ZN9rocsparseL46csr2bsr_nnz_wavefront_per_row_multipass_kernelILj256ELj64ELj16EilEEvT3_S1_S1_S1_S1_21rocsparse_index_base_PKT2_PKS1_S2_PS3_.num_vgpr, 26
	.set _ZN9rocsparseL46csr2bsr_nnz_wavefront_per_row_multipass_kernelILj256ELj64ELj16EilEEvT3_S1_S1_S1_S1_21rocsparse_index_base_PKT2_PKS1_S2_PS3_.num_agpr, 0
	.set _ZN9rocsparseL46csr2bsr_nnz_wavefront_per_row_multipass_kernelILj256ELj64ELj16EilEEvT3_S1_S1_S1_S1_21rocsparse_index_base_PKT2_PKS1_S2_PS3_.numbered_sgpr, 36
	.set _ZN9rocsparseL46csr2bsr_nnz_wavefront_per_row_multipass_kernelILj256ELj64ELj16EilEEvT3_S1_S1_S1_S1_21rocsparse_index_base_PKT2_PKS1_S2_PS3_.num_named_barrier, 0
	.set _ZN9rocsparseL46csr2bsr_nnz_wavefront_per_row_multipass_kernelILj256ELj64ELj16EilEEvT3_S1_S1_S1_S1_21rocsparse_index_base_PKT2_PKS1_S2_PS3_.private_seg_size, 0
	.set _ZN9rocsparseL46csr2bsr_nnz_wavefront_per_row_multipass_kernelILj256ELj64ELj16EilEEvT3_S1_S1_S1_S1_21rocsparse_index_base_PKT2_PKS1_S2_PS3_.uses_vcc, 1
	.set _ZN9rocsparseL46csr2bsr_nnz_wavefront_per_row_multipass_kernelILj256ELj64ELj16EilEEvT3_S1_S1_S1_S1_21rocsparse_index_base_PKT2_PKS1_S2_PS3_.uses_flat_scratch, 0
	.set _ZN9rocsparseL46csr2bsr_nnz_wavefront_per_row_multipass_kernelILj256ELj64ELj16EilEEvT3_S1_S1_S1_S1_21rocsparse_index_base_PKT2_PKS1_S2_PS3_.has_dyn_sized_stack, 0
	.set _ZN9rocsparseL46csr2bsr_nnz_wavefront_per_row_multipass_kernelILj256ELj64ELj16EilEEvT3_S1_S1_S1_S1_21rocsparse_index_base_PKT2_PKS1_S2_PS3_.has_recursion, 0
	.set _ZN9rocsparseL46csr2bsr_nnz_wavefront_per_row_multipass_kernelILj256ELj64ELj16EilEEvT3_S1_S1_S1_S1_21rocsparse_index_base_PKT2_PKS1_S2_PS3_.has_indirect_call, 0
	.section	.AMDGPU.csdata,"",@progbits
; Kernel info:
; codeLenInByte = 1756
; TotalNumSgprs: 40
; NumVgprs: 26
; ScratchSize: 0
; MemoryBound: 0
; FloatMode: 240
; IeeeMode: 1
; LDSByteSize: 40 bytes/workgroup (compile time only)
; SGPRBlocks: 4
; VGPRBlocks: 6
; NumSGPRsForWavesPerEU: 40
; NumVGPRsForWavesPerEU: 26
; Occupancy: 9
; WaveLimiterHint : 0
; COMPUTE_PGM_RSRC2:SCRATCH_EN: 0
; COMPUTE_PGM_RSRC2:USER_SGPR: 6
; COMPUTE_PGM_RSRC2:TRAP_HANDLER: 0
; COMPUTE_PGM_RSRC2:TGID_X_EN: 1
; COMPUTE_PGM_RSRC2:TGID_Y_EN: 0
; COMPUTE_PGM_RSRC2:TGID_Z_EN: 0
; COMPUTE_PGM_RSRC2:TIDIG_COMP_CNT: 0
	.section	.text._ZN9rocsparseL46csr2bsr_nnz_wavefront_per_row_multipass_kernelILj256ELj32ELj16EilEEvT3_S1_S1_S1_S1_21rocsparse_index_base_PKT2_PKS1_S2_PS3_,"axG",@progbits,_ZN9rocsparseL46csr2bsr_nnz_wavefront_per_row_multipass_kernelILj256ELj32ELj16EilEEvT3_S1_S1_S1_S1_21rocsparse_index_base_PKT2_PKS1_S2_PS3_,comdat
	.globl	_ZN9rocsparseL46csr2bsr_nnz_wavefront_per_row_multipass_kernelILj256ELj32ELj16EilEEvT3_S1_S1_S1_S1_21rocsparse_index_base_PKT2_PKS1_S2_PS3_ ; -- Begin function _ZN9rocsparseL46csr2bsr_nnz_wavefront_per_row_multipass_kernelILj256ELj32ELj16EilEEvT3_S1_S1_S1_S1_21rocsparse_index_base_PKT2_PKS1_S2_PS3_
	.p2align	8
	.type	_ZN9rocsparseL46csr2bsr_nnz_wavefront_per_row_multipass_kernelILj256ELj32ELj16EilEEvT3_S1_S1_S1_S1_21rocsparse_index_base_PKT2_PKS1_S2_PS3_,@function
_ZN9rocsparseL46csr2bsr_nnz_wavefront_per_row_multipass_kernelILj256ELj32ELj16EilEEvT3_S1_S1_S1_S1_21rocsparse_index_base_PKT2_PKS1_S2_PS3_: ; @_ZN9rocsparseL46csr2bsr_nnz_wavefront_per_row_multipass_kernelILj256ELj32ELj16EilEEvT3_S1_S1_S1_S1_21rocsparse_index_base_PKT2_PKS1_S2_PS3_
; %bb.0:
	s_load_dwordx2 s[12:13], s[4:5], 0x20
	s_load_dword s28, s[4:5], 0x28
	s_load_dwordx2 s[2:3], s[4:5], 0x30
	s_ashr_i32 s7, s6, 31
	v_lshrrev_b32_e32 v11, 5, v0
	s_lshl_b64 s[0:1], s[6:7], 3
	v_bfe_u32 v1, v0, 1, 4
	v_mov_b32_e32 v2, 0
	v_or_b32_e32 v3, s0, v11
	s_waitcnt lgkmcnt(0)
	v_mul_lo_u32 v5, v3, s13
	v_mad_u64_u32 v[3:4], s[8:9], v3, s12, v[1:2]
	s_load_dwordx2 s[14:15], s[4:5], 0x0
	s_load_dwordx4 s[8:11], s[4:5], 0x10
	s_mul_i32 s0, s1, s12
	v_add3_u32 v4, s0, v4, v5
	v_cmp_gt_i64_e64 s[0:1], s[12:13], v[1:2]
	s_waitcnt lgkmcnt(0)
	v_cmp_gt_i64_e32 vcc, s[14:15], v[3:4]
	v_lshlrev_b32_e32 v10, 3, v11
	v_mov_b32_e32 v5, v2
	v_mov_b32_e32 v6, v2
	s_and_b64 s[0:1], s[0:1], vcc
	v_mov_b32_e32 v1, 0
	ds_write_b64 v10, v[5:6]
	s_waitcnt lgkmcnt(0)
	s_barrier
	s_and_saveexec_b64 s[14:15], s[0:1]
	s_cbranch_execz .LBB28_2
; %bb.1:
	v_lshlrev_b64 v[5:6], 2, v[3:4]
	v_mov_b32_e32 v1, s3
	v_add_co_u32_e32 v5, vcc, s2, v5
	v_addc_co_u32_e32 v6, vcc, v1, v6, vcc
	global_load_dword v1, v[5:6], off
	s_waitcnt vmcnt(0)
	v_subrev_u32_e32 v1, s28, v1
.LBB28_2:
	s_or_b64 exec, exec, s[14:15]
	s_and_saveexec_b64 s[14:15], s[0:1]
	s_cbranch_execz .LBB28_4
; %bb.3:
	v_lshlrev_b64 v[2:3], 2, v[3:4]
	v_mov_b32_e32 v4, s3
	v_add_co_u32_e32 v2, vcc, s2, v2
	v_addc_co_u32_e32 v3, vcc, v4, v3, vcc
	global_load_dword v2, v[2:3], off offset:4
	s_waitcnt vmcnt(0)
	v_subrev_u32_e32 v2, s28, v2
.LBB28_4:
	s_or_b64 exec, exec, s[14:15]
	v_cmp_lt_i64_e64 s[0:1], s[10:11], 1
	v_and_b32_e32 v12, 31, v0
	s_and_b64 vcc, exec, s[0:1]
	v_cmp_eq_u32_e64 s[0:1], 0, v12
	s_cbranch_vccnz .LBB28_22
; %bb.5:
	s_load_dwordx2 s[14:15], s[4:5], 0x38
	v_and_b32_e32 v13, 1, v0
	v_mbcnt_lo_u32_b32 v0, -1, 0
	v_mbcnt_hi_u32_b32 v0, -1, v0
	v_lshlrev_b32_e32 v0, 2, v0
	v_mov_b32_e32 v5, 0
	v_or_b32_e32 v14, 4, v0
	v_or_b32_e32 v15, 0x7c, v0
	s_mov_b64 s[16:17], 0
	v_mov_b32_e32 v6, 0
	v_mov_b32_e32 v0, 0
	;; [unrolled: 1-line block ×3, first 2 shown]
	s_ashr_i32 s18, s13, 31
	s_branch .LBB28_7
.LBB28_6:                               ;   in Loop: Header=BB28_7 Depth=1
	s_or_b64 exec, exec, s[2:3]
	v_mov_b32_dpp v5, v3 row_shr:1 row_mask:0xf bank_mask:0xf
	v_mov_b32_dpp v6, v4 row_shr:1 row_mask:0xf bank_mask:0xf
	v_cmp_lt_i64_e32 vcc, v[5:6], v[3:4]
	s_waitcnt lgkmcnt(0)
	v_cndmask_b32_e32 v4, v4, v6, vcc
	v_cndmask_b32_e32 v3, v3, v5, vcc
	s_nop 0
	v_mov_b32_dpp v6, v4 row_shr:2 row_mask:0xf bank_mask:0xf
	v_mov_b32_dpp v5, v3 row_shr:2 row_mask:0xf bank_mask:0xf
	v_cmp_lt_i64_e32 vcc, v[5:6], v[3:4]
	v_cndmask_b32_e32 v4, v4, v6, vcc
	v_cndmask_b32_e32 v3, v3, v5, vcc
	s_nop 0
	v_mov_b32_dpp v6, v4 row_shr:4 row_mask:0xf bank_mask:0xe
	v_mov_b32_dpp v5, v3 row_shr:4 row_mask:0xf bank_mask:0xe
	v_cmp_lt_i64_e32 vcc, v[5:6], v[3:4]
	;; [unrolled: 6-line block ×3, first 2 shown]
	v_cndmask_b32_e32 v4, v4, v6, vcc
	v_cndmask_b32_e32 v3, v3, v5, vcc
	s_nop 0
	v_mov_b32_dpp v6, v4 row_bcast:15 row_mask:0xa bank_mask:0xf
	v_mov_b32_dpp v5, v3 row_bcast:15 row_mask:0xa bank_mask:0xf
	v_cmp_lt_i64_e32 vcc, v[5:6], v[3:4]
	v_cndmask_b32_e32 v3, v3, v5, vcc
	ds_bpermute_b32 v5, v15, v3
	s_waitcnt lgkmcnt(0)
	v_ashrrev_i32_e32 v6, 31, v5
	v_cmp_le_i64_e32 vcc, s[10:11], v[5:6]
	s_or_b64 s[16:17], vcc, s[16:17]
	s_andn2_b64 exec, exec, s[16:17]
	s_cbranch_execz .LBB28_21
.LBB28_7:                               ; =>This Loop Header: Depth=1
                                        ;     Child Loop BB28_10 Depth 2
	v_add_u32_e32 v7, v1, v13
	v_mov_b32_e32 v3, s10
	v_cmp_lt_i32_e32 vcc, v7, v2
	v_mov_b32_e32 v4, s11
	v_mov_b32_e32 v1, v2
	ds_write_b8 v11, v0 offset:64
	s_waitcnt lgkmcnt(0)
	s_and_saveexec_b64 s[20:21], vcc
	s_cbranch_execz .LBB28_19
; %bb.8:                                ;   in Loop: Header=BB28_7 Depth=1
	v_mov_b32_e32 v3, s10
	s_mov_b64 s[22:23], 0
	v_mov_b32_e32 v4, s11
	v_mov_b32_e32 v17, v2
	s_branch .LBB28_10
.LBB28_9:                               ;   in Loop: Header=BB28_10 Depth=2
	s_or_b64 exec, exec, s[2:3]
	v_add_u32_e32 v7, 2, v7
	v_cmp_ge_i32_e64 s[2:3], v7, v2
	s_xor_b64 s[24:25], vcc, -1
	s_or_b64 s[2:3], s[24:25], s[2:3]
	s_and_b64 s[2:3], exec, s[2:3]
	s_or_b64 s[22:23], s[2:3], s[22:23]
	v_mov_b32_e32 v17, v1
	s_andn2_b64 exec, exec, s[22:23]
	s_cbranch_execz .LBB28_18
.LBB28_10:                              ;   Parent Loop BB28_7 Depth=1
                                        ; =>  This Inner Loop Header: Depth=2
	v_ashrrev_i32_e32 v8, 31, v7
	v_lshlrev_b64 v[8:9], 3, v[7:8]
	v_mov_b32_e32 v1, s15
	v_add_co_u32_e32 v8, vcc, s14, v8
	v_addc_co_u32_e32 v9, vcc, v1, v9, vcc
	global_load_dwordx2 v[8:9], v[8:9], off
	s_waitcnt vmcnt(0)
	v_subrev_co_u32_e32 v18, vcc, s28, v8
	v_subbrev_co_u32_e32 v19, vcc, 0, v9, vcc
	v_or_b32_e32 v1, s13, v19
	v_cmp_ne_u64_e32 vcc, 0, v[0:1]
                                        ; implicit-def: $vgpr8_vgpr9
	s_and_saveexec_b64 s[2:3], vcc
	s_xor_b64 s[24:25], exec, s[2:3]
	s_cbranch_execz .LBB28_12
; %bb.11:                               ;   in Loop: Header=BB28_10 Depth=2
	s_add_u32 s2, s12, s18
	s_mov_b32 s19, s18
	s_addc_u32 s3, s13, s18
	s_xor_b64 s[26:27], s[2:3], s[18:19]
	v_cvt_f32_u32_e32 v1, s26
	v_cvt_f32_u32_e32 v8, s27
	s_sub_u32 s7, 0, s26
	s_subb_u32 s19, 0, s27
	v_mac_f32_e32 v1, 0x4f800000, v8
	v_rcp_f32_e32 v1, v1
	v_mul_f32_e32 v1, 0x5f7ffffc, v1
	v_mul_f32_e32 v8, 0x2f800000, v1
	v_trunc_f32_e32 v8, v8
	v_mac_f32_e32 v1, 0xcf800000, v8
	v_cvt_u32_f32_e32 v8, v8
	v_cvt_u32_f32_e32 v1, v1
	v_readfirstlane_b32 s29, v8
	v_readfirstlane_b32 s2, v1
	s_mul_i32 s3, s7, s29
	s_mul_hi_u32 s31, s7, s2
	s_mul_i32 s30, s19, s2
	s_add_i32 s3, s31, s3
	s_add_i32 s3, s3, s30
	s_mul_i32 s33, s7, s2
	s_mul_i32 s31, s2, s3
	s_mul_hi_u32 s34, s2, s33
	s_mul_hi_u32 s30, s2, s3
	s_add_u32 s31, s34, s31
	s_addc_u32 s30, 0, s30
	s_mul_hi_u32 s35, s29, s33
	s_mul_i32 s33, s29, s33
	s_add_u32 s31, s31, s33
	s_mul_hi_u32 s34, s29, s3
	s_addc_u32 s30, s30, s35
	s_addc_u32 s31, s34, 0
	s_mul_i32 s3, s29, s3
	s_add_u32 s3, s30, s3
	s_addc_u32 s30, 0, s31
	s_add_u32 s31, s2, s3
	s_cselect_b64 s[2:3], -1, 0
	s_cmp_lg_u64 s[2:3], 0
	s_addc_u32 s29, s29, s30
	s_mul_i32 s2, s7, s29
	s_mul_hi_u32 s3, s7, s31
	s_add_i32 s2, s3, s2
	s_mul_i32 s19, s19, s31
	s_add_i32 s2, s2, s19
	s_mul_i32 s7, s7, s31
	s_mul_hi_u32 s19, s29, s7
	s_mul_i32 s30, s29, s7
	s_mul_i32 s34, s31, s2
	s_mul_hi_u32 s7, s31, s7
	s_mul_hi_u32 s33, s31, s2
	s_add_u32 s7, s7, s34
	s_addc_u32 s33, 0, s33
	s_add_u32 s7, s7, s30
	s_mul_hi_u32 s3, s29, s2
	s_addc_u32 s7, s33, s19
	s_addc_u32 s3, s3, 0
	s_mul_i32 s2, s29, s2
	s_add_u32 s2, s7, s2
	s_addc_u32 s7, 0, s3
	s_add_u32 s19, s31, s2
	s_cselect_b64 s[2:3], -1, 0
	v_ashrrev_i32_e32 v1, 31, v19
	s_cmp_lg_u64 s[2:3], 0
	v_add_co_u32_e32 v8, vcc, v18, v1
	s_addc_u32 s7, s29, s7
	v_xor_b32_e32 v20, v8, v1
	v_addc_co_u32_e32 v18, vcc, v19, v1, vcc
	v_mad_u64_u32 v[8:9], s[2:3], v20, s7, 0
	v_mul_hi_u32 v19, v20, s19
	v_xor_b32_e32 v21, v18, v1
	v_xor_b32_e32 v1, s18, v1
	v_add_co_u32_e32 v22, vcc, v19, v8
	v_addc_co_u32_e32 v23, vcc, 0, v9, vcc
	v_mad_u64_u32 v[8:9], s[2:3], v21, s19, 0
	v_mad_u64_u32 v[18:19], s[2:3], v21, s7, 0
	v_add_co_u32_e32 v8, vcc, v22, v8
	v_addc_co_u32_e32 v8, vcc, v23, v9, vcc
	v_addc_co_u32_e32 v9, vcc, 0, v19, vcc
	v_add_co_u32_e32 v18, vcc, v8, v18
	v_addc_co_u32_e32 v19, vcc, 0, v9, vcc
	v_mul_lo_u32 v22, s27, v18
	v_mul_lo_u32 v23, s26, v19
	v_mad_u64_u32 v[8:9], s[2:3], s26, v18, 0
	v_add3_u32 v9, v9, v23, v22
	v_sub_u32_e32 v22, v21, v9
	v_mov_b32_e32 v23, s27
	v_sub_co_u32_e32 v8, vcc, v20, v8
	v_subb_co_u32_e64 v20, s[2:3], v22, v23, vcc
	v_subrev_co_u32_e64 v22, s[2:3], s26, v8
	v_subbrev_co_u32_e64 v20, s[2:3], 0, v20, s[2:3]
	v_cmp_le_u32_e64 s[2:3], s27, v20
	v_cndmask_b32_e64 v23, 0, -1, s[2:3]
	v_cmp_le_u32_e64 s[2:3], s26, v22
	v_cndmask_b32_e64 v22, 0, -1, s[2:3]
	v_cmp_eq_u32_e64 s[2:3], s27, v20
	v_cndmask_b32_e64 v20, v23, v22, s[2:3]
	v_add_co_u32_e64 v22, s[2:3], 2, v18
	v_subb_co_u32_e32 v9, vcc, v21, v9, vcc
	v_addc_co_u32_e64 v23, s[2:3], 0, v19, s[2:3]
	v_cmp_le_u32_e32 vcc, s27, v9
	v_add_co_u32_e64 v24, s[2:3], 1, v18
	v_cndmask_b32_e64 v21, 0, -1, vcc
	v_cmp_le_u32_e32 vcc, s26, v8
	v_addc_co_u32_e64 v25, s[2:3], 0, v19, s[2:3]
	v_cndmask_b32_e64 v8, 0, -1, vcc
	v_cmp_eq_u32_e32 vcc, s27, v9
	v_cmp_ne_u32_e64 s[2:3], 0, v20
	v_cndmask_b32_e32 v8, v21, v8, vcc
	v_cndmask_b32_e64 v20, v25, v23, s[2:3]
	v_cmp_ne_u32_e32 vcc, 0, v8
	v_cndmask_b32_e64 v9, v24, v22, s[2:3]
	v_cndmask_b32_e32 v8, v19, v20, vcc
	v_cndmask_b32_e32 v9, v18, v9, vcc
	v_xor_b32_e32 v18, v8, v1
	v_xor_b32_e32 v8, v9, v1
	v_sub_co_u32_e32 v8, vcc, v8, v1
	v_subb_co_u32_e32 v9, vcc, v18, v1, vcc
                                        ; implicit-def: $vgpr18
.LBB28_12:                              ;   in Loop: Header=BB28_10 Depth=2
	s_andn2_saveexec_b64 s[2:3], s[24:25]
	s_cbranch_execz .LBB28_14
; %bb.13:                               ;   in Loop: Header=BB28_10 Depth=2
	v_cvt_f32_u32_e32 v1, s12
	s_sub_i32 s7, 0, s12
	v_rcp_iflag_f32_e32 v1, v1
	v_mul_f32_e32 v1, 0x4f7ffffe, v1
	v_cvt_u32_f32_e32 v1, v1
	v_mul_lo_u32 v8, s7, v1
	v_mul_hi_u32 v8, v1, v8
	v_add_u32_e32 v1, v1, v8
	v_mul_hi_u32 v1, v18, v1
	v_mul_lo_u32 v8, v1, s12
	v_add_u32_e32 v9, 1, v1
	v_sub_u32_e32 v8, v18, v8
	v_subrev_u32_e32 v18, s12, v8
	v_cmp_le_u32_e32 vcc, s12, v8
	v_cndmask_b32_e32 v8, v8, v18, vcc
	v_cndmask_b32_e32 v1, v1, v9, vcc
	v_add_u32_e32 v9, 1, v1
	v_cmp_le_u32_e32 vcc, s12, v8
	v_cndmask_b32_e32 v8, v1, v9, vcc
	v_mov_b32_e32 v9, v0
.LBB28_14:                              ;   in Loop: Header=BB28_10 Depth=2
	s_or_b64 exec, exec, s[2:3]
	v_cmp_eq_u64_e32 vcc, v[8:9], v[5:6]
	v_cmp_ne_u64_e64 s[2:3], v[8:9], v[5:6]
	s_and_saveexec_b64 s[24:25], s[2:3]
	s_xor_b64 s[24:25], exec, s[24:25]
; %bb.15:                               ;   in Loop: Header=BB28_10 Depth=2
	v_cmp_lt_i64_e64 s[2:3], v[8:9], v[3:4]
                                        ; implicit-def: $vgpr17
	v_cndmask_b32_e64 v4, v4, v9, s[2:3]
	v_cndmask_b32_e64 v3, v3, v8, s[2:3]
; %bb.16:                               ;   in Loop: Header=BB28_10 Depth=2
	s_or_saveexec_b64 s[2:3], s[24:25]
	v_mov_b32_e32 v1, v7
	s_xor_b64 exec, exec, s[2:3]
	s_cbranch_execz .LBB28_9
; %bb.17:                               ;   in Loop: Header=BB28_10 Depth=2
	v_mov_b32_e32 v1, v17
	ds_write_b8 v11, v16 offset:64
	s_branch .LBB28_9
.LBB28_18:                              ;   in Loop: Header=BB28_7 Depth=1
	s_or_b64 exec, exec, s[22:23]
.LBB28_19:                              ;   in Loop: Header=BB28_7 Depth=1
	s_or_b64 exec, exec, s[20:21]
	s_waitcnt lgkmcnt(0)
	ds_read_u8 v5, v11 offset:64
	v_mov_b32_dpp v6, v1 row_shr:1 row_mask:0xf bank_mask:0xf
	v_min_i32_e32 v1, v6, v1
	ds_bpermute_b32 v1, v14, v1
	s_waitcnt lgkmcnt(1)
	v_and_b32_e32 v5, 1, v5
	v_cmp_eq_u32_e32 vcc, 1, v5
	s_and_b64 s[20:21], s[0:1], vcc
	s_and_saveexec_b64 s[2:3], s[20:21]
	s_cbranch_execz .LBB28_6
; %bb.20:                               ;   in Loop: Header=BB28_7 Depth=1
	ds_read_b64 v[5:6], v10
	s_waitcnt lgkmcnt(0)
	v_add_co_u32_e32 v5, vcc, 1, v5
	v_addc_co_u32_e32 v6, vcc, 0, v6, vcc
	ds_write_b64 v10, v[5:6]
	s_branch .LBB28_6
.LBB28_21:
	s_or_b64 exec, exec, s[16:17]
.LBB28_22:
	v_cmp_eq_u32_e32 vcc, 0, v12
	s_and_saveexec_b64 s[0:1], vcc
	s_cbranch_execz .LBB28_25
; %bb.23:
	s_load_dword s2, s[4:5], 0x40
	s_load_dwordx2 s[0:1], s[4:5], 0x48
	v_mov_b32_e32 v1, 0
	v_lshl_or_b32 v0, s6, 3, v11
	v_cmp_gt_i64_e32 vcc, s[8:9], v[0:1]
	s_waitcnt lgkmcnt(0)
	v_mov_b32_e32 v2, s2
	global_store_dword v1, v2, s[0:1]
	s_and_b64 exec, exec, vcc
	s_cbranch_execz .LBB28_25
; %bb.24:
	v_add_u32_e32 v0, 1, v0
	ds_read_b32 v3, v10
	v_lshlrev_b64 v[0:1], 2, v[0:1]
	v_mov_b32_e32 v2, s1
	v_add_co_u32_e32 v0, vcc, s0, v0
	v_addc_co_u32_e32 v1, vcc, v2, v1, vcc
	s_waitcnt lgkmcnt(0)
	global_store_dword v[0:1], v3, off
.LBB28_25:
	s_endpgm
	.section	.rodata,"a",@progbits
	.p2align	6, 0x0
	.amdhsa_kernel _ZN9rocsparseL46csr2bsr_nnz_wavefront_per_row_multipass_kernelILj256ELj32ELj16EilEEvT3_S1_S1_S1_S1_21rocsparse_index_base_PKT2_PKS1_S2_PS3_
		.amdhsa_group_segment_fixed_size 72
		.amdhsa_private_segment_fixed_size 0
		.amdhsa_kernarg_size 80
		.amdhsa_user_sgpr_count 6
		.amdhsa_user_sgpr_private_segment_buffer 1
		.amdhsa_user_sgpr_dispatch_ptr 0
		.amdhsa_user_sgpr_queue_ptr 0
		.amdhsa_user_sgpr_kernarg_segment_ptr 1
		.amdhsa_user_sgpr_dispatch_id 0
		.amdhsa_user_sgpr_flat_scratch_init 0
		.amdhsa_user_sgpr_private_segment_size 0
		.amdhsa_uses_dynamic_stack 0
		.amdhsa_system_sgpr_private_segment_wavefront_offset 0
		.amdhsa_system_sgpr_workgroup_id_x 1
		.amdhsa_system_sgpr_workgroup_id_y 0
		.amdhsa_system_sgpr_workgroup_id_z 0
		.amdhsa_system_sgpr_workgroup_info 0
		.amdhsa_system_vgpr_workitem_id 0
		.amdhsa_next_free_vgpr 26
		.amdhsa_next_free_sgpr 36
		.amdhsa_reserve_vcc 1
		.amdhsa_reserve_flat_scratch 0
		.amdhsa_float_round_mode_32 0
		.amdhsa_float_round_mode_16_64 0
		.amdhsa_float_denorm_mode_32 3
		.amdhsa_float_denorm_mode_16_64 3
		.amdhsa_dx10_clamp 1
		.amdhsa_ieee_mode 1
		.amdhsa_fp16_overflow 0
		.amdhsa_exception_fp_ieee_invalid_op 0
		.amdhsa_exception_fp_denorm_src 0
		.amdhsa_exception_fp_ieee_div_zero 0
		.amdhsa_exception_fp_ieee_overflow 0
		.amdhsa_exception_fp_ieee_underflow 0
		.amdhsa_exception_fp_ieee_inexact 0
		.amdhsa_exception_int_div_zero 0
	.end_amdhsa_kernel
	.section	.text._ZN9rocsparseL46csr2bsr_nnz_wavefront_per_row_multipass_kernelILj256ELj32ELj16EilEEvT3_S1_S1_S1_S1_21rocsparse_index_base_PKT2_PKS1_S2_PS3_,"axG",@progbits,_ZN9rocsparseL46csr2bsr_nnz_wavefront_per_row_multipass_kernelILj256ELj32ELj16EilEEvT3_S1_S1_S1_S1_21rocsparse_index_base_PKT2_PKS1_S2_PS3_,comdat
.Lfunc_end28:
	.size	_ZN9rocsparseL46csr2bsr_nnz_wavefront_per_row_multipass_kernelILj256ELj32ELj16EilEEvT3_S1_S1_S1_S1_21rocsparse_index_base_PKT2_PKS1_S2_PS3_, .Lfunc_end28-_ZN9rocsparseL46csr2bsr_nnz_wavefront_per_row_multipass_kernelILj256ELj32ELj16EilEEvT3_S1_S1_S1_S1_21rocsparse_index_base_PKT2_PKS1_S2_PS3_
                                        ; -- End function
	.set _ZN9rocsparseL46csr2bsr_nnz_wavefront_per_row_multipass_kernelILj256ELj32ELj16EilEEvT3_S1_S1_S1_S1_21rocsparse_index_base_PKT2_PKS1_S2_PS3_.num_vgpr, 26
	.set _ZN9rocsparseL46csr2bsr_nnz_wavefront_per_row_multipass_kernelILj256ELj32ELj16EilEEvT3_S1_S1_S1_S1_21rocsparse_index_base_PKT2_PKS1_S2_PS3_.num_agpr, 0
	.set _ZN9rocsparseL46csr2bsr_nnz_wavefront_per_row_multipass_kernelILj256ELj32ELj16EilEEvT3_S1_S1_S1_S1_21rocsparse_index_base_PKT2_PKS1_S2_PS3_.numbered_sgpr, 36
	.set _ZN9rocsparseL46csr2bsr_nnz_wavefront_per_row_multipass_kernelILj256ELj32ELj16EilEEvT3_S1_S1_S1_S1_21rocsparse_index_base_PKT2_PKS1_S2_PS3_.num_named_barrier, 0
	.set _ZN9rocsparseL46csr2bsr_nnz_wavefront_per_row_multipass_kernelILj256ELj32ELj16EilEEvT3_S1_S1_S1_S1_21rocsparse_index_base_PKT2_PKS1_S2_PS3_.private_seg_size, 0
	.set _ZN9rocsparseL46csr2bsr_nnz_wavefront_per_row_multipass_kernelILj256ELj32ELj16EilEEvT3_S1_S1_S1_S1_21rocsparse_index_base_PKT2_PKS1_S2_PS3_.uses_vcc, 1
	.set _ZN9rocsparseL46csr2bsr_nnz_wavefront_per_row_multipass_kernelILj256ELj32ELj16EilEEvT3_S1_S1_S1_S1_21rocsparse_index_base_PKT2_PKS1_S2_PS3_.uses_flat_scratch, 0
	.set _ZN9rocsparseL46csr2bsr_nnz_wavefront_per_row_multipass_kernelILj256ELj32ELj16EilEEvT3_S1_S1_S1_S1_21rocsparse_index_base_PKT2_PKS1_S2_PS3_.has_dyn_sized_stack, 0
	.set _ZN9rocsparseL46csr2bsr_nnz_wavefront_per_row_multipass_kernelILj256ELj32ELj16EilEEvT3_S1_S1_S1_S1_21rocsparse_index_base_PKT2_PKS1_S2_PS3_.has_recursion, 0
	.set _ZN9rocsparseL46csr2bsr_nnz_wavefront_per_row_multipass_kernelILj256ELj32ELj16EilEEvT3_S1_S1_S1_S1_21rocsparse_index_base_PKT2_PKS1_S2_PS3_.has_indirect_call, 0
	.section	.AMDGPU.csdata,"",@progbits
; Kernel info:
; codeLenInByte = 1712
; TotalNumSgprs: 40
; NumVgprs: 26
; ScratchSize: 0
; MemoryBound: 0
; FloatMode: 240
; IeeeMode: 1
; LDSByteSize: 72 bytes/workgroup (compile time only)
; SGPRBlocks: 4
; VGPRBlocks: 6
; NumSGPRsForWavesPerEU: 40
; NumVGPRsForWavesPerEU: 26
; Occupancy: 9
; WaveLimiterHint : 0
; COMPUTE_PGM_RSRC2:SCRATCH_EN: 0
; COMPUTE_PGM_RSRC2:USER_SGPR: 6
; COMPUTE_PGM_RSRC2:TRAP_HANDLER: 0
; COMPUTE_PGM_RSRC2:TGID_X_EN: 1
; COMPUTE_PGM_RSRC2:TGID_Y_EN: 0
; COMPUTE_PGM_RSRC2:TGID_Z_EN: 0
; COMPUTE_PGM_RSRC2:TIDIG_COMP_CNT: 0
	.section	.text._ZN9rocsparseL42csr2bsr_nnz_block_per_row_multipass_kernelILj256ELj32EilEEvT2_S1_S1_S1_S1_21rocsparse_index_base_PKT1_PKS1_S2_PS3_,"axG",@progbits,_ZN9rocsparseL42csr2bsr_nnz_block_per_row_multipass_kernelILj256ELj32EilEEvT2_S1_S1_S1_S1_21rocsparse_index_base_PKT1_PKS1_S2_PS3_,comdat
	.globl	_ZN9rocsparseL42csr2bsr_nnz_block_per_row_multipass_kernelILj256ELj32EilEEvT2_S1_S1_S1_S1_21rocsparse_index_base_PKT1_PKS1_S2_PS3_ ; -- Begin function _ZN9rocsparseL42csr2bsr_nnz_block_per_row_multipass_kernelILj256ELj32EilEEvT2_S1_S1_S1_S1_21rocsparse_index_base_PKT1_PKS1_S2_PS3_
	.p2align	8
	.type	_ZN9rocsparseL42csr2bsr_nnz_block_per_row_multipass_kernelILj256ELj32EilEEvT2_S1_S1_S1_S1_21rocsparse_index_base_PKT1_PKS1_S2_PS3_,@function
_ZN9rocsparseL42csr2bsr_nnz_block_per_row_multipass_kernelILj256ELj32EilEEvT2_S1_S1_S1_S1_21rocsparse_index_base_PKT1_PKS1_S2_PS3_: ; @_ZN9rocsparseL42csr2bsr_nnz_block_per_row_multipass_kernelILj256ELj32EilEEvT2_S1_S1_S1_S1_21rocsparse_index_base_PKT1_PKS1_S2_PS3_
; %bb.0:
	s_load_dwordx2 s[0:1], s[4:5], 0x0
	s_load_dwordx4 s[24:27], s[4:5], 0x18
	s_load_dword s33, s[4:5], 0x28
	s_load_dwordx2 s[2:3], s[4:5], 0x30
	v_lshrrev_b32_e32 v1, 3, v0
	v_mov_b32_e32 v2, 0
	v_mov_b32_e32 v3, s6
	s_waitcnt lgkmcnt(0)
	v_mad_u64_u32 v[3:4], s[8:9], s26, v3, v[1:2]
	s_ashr_i32 s7, s6, 31
	s_mul_i32 s8, s27, s6
	s_mul_i32 s9, s26, s7
	s_add_i32 s9, s9, s8
	v_add_u32_e32 v4, s9, v4
	v_cmp_gt_i64_e32 vcc, s[0:1], v[3:4]
	v_cmp_gt_i64_e64 s[0:1], s[26:27], v[1:2]
	v_mov_b32_e32 v5, v2
	v_mov_b32_e32 v6, v2
	s_and_b64 s[0:1], s[0:1], vcc
	v_mov_b32_e32 v9, 0
	ds_write_b64 v2, v[5:6] offset:2048
	s_waitcnt lgkmcnt(0)
	s_barrier
	s_and_saveexec_b64 s[8:9], s[0:1]
	s_cbranch_execz .LBB29_2
; %bb.1:
	v_lshlrev_b64 v[5:6], 2, v[3:4]
	v_mov_b32_e32 v1, s3
	v_add_co_u32_e32 v5, vcc, s2, v5
	v_addc_co_u32_e32 v6, vcc, v1, v6, vcc
	global_load_dword v1, v[5:6], off
	s_waitcnt vmcnt(0)
	v_subrev_u32_e32 v9, s33, v1
.LBB29_2:
	s_or_b64 exec, exec, s[8:9]
	s_and_saveexec_b64 s[8:9], s[0:1]
	s_cbranch_execz .LBB29_4
; %bb.3:
	v_lshlrev_b64 v[1:2], 2, v[3:4]
	v_mov_b32_e32 v3, s3
	v_add_co_u32_e32 v1, vcc, s2, v1
	v_addc_co_u32_e32 v2, vcc, v3, v2, vcc
	global_load_dword v1, v[1:2], off offset:4
	s_waitcnt vmcnt(0)
	v_subrev_u32_e32 v2, s33, v1
.LBB29_4:
	s_or_b64 exec, exec, s[8:9]
	v_cmp_lt_i64_e64 s[0:1], s[24:25], 1
	s_and_b64 vcc, exec, s[0:1]
	v_cmp_eq_u32_e64 s[0:1], 0, v0
	s_cbranch_vccnz .LBB29_37
; %bb.5:
	s_load_dwordx2 s[22:23], s[4:5], 0x38
	v_mbcnt_lo_u32_b32 v3, -1, 0
	v_mbcnt_hi_u32_b32 v3, -1, v3
	s_movk_i32 s2, 0x80
	v_mov_b32_e32 v7, 0
	v_and_b32_e32 v1, 7, v0
	v_lshl_or_b32 v12, v3, 2, 28
	v_lshlrev_b32_e32 v13, 3, v0
	v_cmp_gt_u32_e64 s[2:3], s2, v0
	v_cmp_gt_u32_e64 s[8:9], 64, v0
	;; [unrolled: 1-line block ×7, first 2 shown]
	v_mov_b32_e32 v8, 0
	v_mov_b32_e32 v3, 0
	;; [unrolled: 1-line block ×3, first 2 shown]
	s_ashr_i32 s28, s27, 31
	s_sub_i32 s40, 0, s26
	s_branch .LBB29_7
.LBB29_6:                               ;   in Loop: Header=BB29_7 Depth=1
	s_or_b64 exec, exec, s[20:21]
	s_waitcnt lgkmcnt(0)
	s_barrier
	ds_read_b32 v7, v3
	s_waitcnt lgkmcnt(0)
	s_barrier
	v_ashrrev_i32_e32 v8, 31, v7
	v_cmp_gt_i64_e32 vcc, s[24:25], v[7:8]
	s_cbranch_vccz .LBB29_37
.LBB29_7:                               ; =>This Loop Header: Depth=1
                                        ;     Child Loop BB29_10 Depth 2
	v_add_u32_e32 v9, v9, v1
	v_mov_b32_e32 v5, s24
	v_cmp_lt_i32_e32 vcc, v9, v2
	v_mov_b32_e32 v6, s25
	v_mov_b32_e32 v4, v2
	ds_write_b8 v3, v3 offset:2056
	s_waitcnt lgkmcnt(0)
	s_barrier
	s_and_saveexec_b64 s[30:31], vcc
	s_cbranch_execz .LBB29_19
; %bb.8:                                ;   in Loop: Header=BB29_7 Depth=1
	v_mov_b32_e32 v5, s24
	s_mov_b64 s[34:35], 0
	v_mov_b32_e32 v6, s25
	v_mov_b32_e32 v15, v2
	s_branch .LBB29_10
.LBB29_9:                               ;   in Loop: Header=BB29_10 Depth=2
	s_or_b64 exec, exec, s[20:21]
	v_add_u32_e32 v9, 8, v9
	v_cmp_ge_i32_e64 s[20:21], v9, v2
	s_xor_b64 s[36:37], vcc, -1
	s_or_b64 s[20:21], s[36:37], s[20:21]
	s_and_b64 s[20:21], exec, s[20:21]
	s_or_b64 s[34:35], s[20:21], s[34:35]
	v_mov_b32_e32 v15, v4
	s_andn2_b64 exec, exec, s[34:35]
	s_cbranch_execz .LBB29_18
.LBB29_10:                              ;   Parent Loop BB29_7 Depth=1
                                        ; =>  This Inner Loop Header: Depth=2
	v_ashrrev_i32_e32 v10, 31, v9
	v_lshlrev_b64 v[10:11], 3, v[9:10]
	v_mov_b32_e32 v4, s23
	v_add_co_u32_e32 v10, vcc, s22, v10
	v_addc_co_u32_e32 v11, vcc, v4, v11, vcc
	global_load_dwordx2 v[10:11], v[10:11], off
	s_waitcnt vmcnt(0)
	v_subrev_co_u32_e32 v16, vcc, s33, v10
	v_subbrev_co_u32_e32 v17, vcc, 0, v11, vcc
	v_or_b32_e32 v4, s27, v17
	v_cmp_ne_u64_e32 vcc, 0, v[3:4]
                                        ; implicit-def: $vgpr10_vgpr11
	s_and_saveexec_b64 s[20:21], vcc
	s_xor_b64 s[36:37], exec, s[20:21]
	s_cbranch_execz .LBB29_12
; %bb.11:                               ;   in Loop: Header=BB29_10 Depth=2
	s_add_u32 s20, s26, s28
	s_mov_b32 s29, s28
	s_addc_u32 s21, s27, s28
	s_xor_b64 s[38:39], s[20:21], s[28:29]
	v_cvt_f32_u32_e32 v4, s38
	v_cvt_f32_u32_e32 v10, s39
	s_sub_u32 s29, 0, s38
	s_subb_u32 s41, 0, s39
	v_mac_f32_e32 v4, 0x4f800000, v10
	v_rcp_f32_e32 v4, v4
	v_mul_f32_e32 v4, 0x5f7ffffc, v4
	v_mul_f32_e32 v10, 0x2f800000, v4
	v_trunc_f32_e32 v10, v10
	v_mac_f32_e32 v4, 0xcf800000, v10
	v_cvt_u32_f32_e32 v10, v10
	v_cvt_u32_f32_e32 v4, v4
	v_readfirstlane_b32 s42, v10
	v_readfirstlane_b32 s20, v4
	s_mul_i32 s21, s29, s42
	s_mul_hi_u32 s44, s29, s20
	s_mul_i32 s43, s41, s20
	s_add_i32 s21, s44, s21
	s_add_i32 s21, s21, s43
	s_mul_i32 s45, s29, s20
	s_mul_i32 s44, s20, s21
	s_mul_hi_u32 s46, s20, s45
	s_mul_hi_u32 s43, s20, s21
	s_add_u32 s44, s46, s44
	s_addc_u32 s43, 0, s43
	s_mul_hi_u32 s47, s42, s45
	s_mul_i32 s45, s42, s45
	s_add_u32 s44, s44, s45
	s_mul_hi_u32 s46, s42, s21
	s_addc_u32 s43, s43, s47
	s_addc_u32 s44, s46, 0
	s_mul_i32 s21, s42, s21
	s_add_u32 s21, s43, s21
	s_addc_u32 s43, 0, s44
	s_add_u32 s44, s20, s21
	s_cselect_b64 s[20:21], -1, 0
	s_cmp_lg_u64 s[20:21], 0
	s_addc_u32 s42, s42, s43
	s_mul_i32 s20, s29, s42
	s_mul_hi_u32 s21, s29, s44
	s_add_i32 s20, s21, s20
	s_mul_i32 s41, s41, s44
	s_add_i32 s20, s20, s41
	s_mul_i32 s29, s29, s44
	s_mul_hi_u32 s41, s42, s29
	s_mul_i32 s43, s42, s29
	s_mul_i32 s46, s44, s20
	s_mul_hi_u32 s29, s44, s29
	s_mul_hi_u32 s45, s44, s20
	s_add_u32 s29, s29, s46
	s_addc_u32 s45, 0, s45
	s_add_u32 s29, s29, s43
	s_mul_hi_u32 s21, s42, s20
	s_addc_u32 s29, s45, s41
	s_addc_u32 s21, s21, 0
	s_mul_i32 s20, s42, s20
	s_add_u32 s20, s29, s20
	s_addc_u32 s29, 0, s21
	s_add_u32 s41, s44, s20
	s_cselect_b64 s[20:21], -1, 0
	v_ashrrev_i32_e32 v4, 31, v17
	s_cmp_lg_u64 s[20:21], 0
	v_add_co_u32_e32 v10, vcc, v16, v4
	s_addc_u32 s29, s42, s29
	v_xor_b32_e32 v18, v10, v4
	v_addc_co_u32_e32 v16, vcc, v17, v4, vcc
	v_mad_u64_u32 v[10:11], s[20:21], v18, s29, 0
	v_mul_hi_u32 v17, v18, s41
	v_xor_b32_e32 v19, v16, v4
	v_xor_b32_e32 v4, s28, v4
	v_add_co_u32_e32 v20, vcc, v17, v10
	v_addc_co_u32_e32 v21, vcc, 0, v11, vcc
	v_mad_u64_u32 v[10:11], s[20:21], v19, s41, 0
	v_mad_u64_u32 v[16:17], s[20:21], v19, s29, 0
	v_add_co_u32_e32 v10, vcc, v20, v10
	v_addc_co_u32_e32 v10, vcc, v21, v11, vcc
	v_addc_co_u32_e32 v11, vcc, 0, v17, vcc
	v_add_co_u32_e32 v16, vcc, v10, v16
	v_addc_co_u32_e32 v17, vcc, 0, v11, vcc
	v_mul_lo_u32 v20, s39, v16
	v_mul_lo_u32 v21, s38, v17
	v_mad_u64_u32 v[10:11], s[20:21], s38, v16, 0
	v_add3_u32 v11, v11, v21, v20
	v_sub_u32_e32 v20, v19, v11
	v_mov_b32_e32 v21, s39
	v_sub_co_u32_e32 v10, vcc, v18, v10
	v_subb_co_u32_e64 v18, s[20:21], v20, v21, vcc
	v_subrev_co_u32_e64 v20, s[20:21], s38, v10
	v_subbrev_co_u32_e64 v18, s[20:21], 0, v18, s[20:21]
	v_cmp_le_u32_e64 s[20:21], s39, v18
	v_cndmask_b32_e64 v21, 0, -1, s[20:21]
	v_cmp_le_u32_e64 s[20:21], s38, v20
	v_cndmask_b32_e64 v20, 0, -1, s[20:21]
	v_cmp_eq_u32_e64 s[20:21], s39, v18
	v_cndmask_b32_e64 v18, v21, v20, s[20:21]
	v_add_co_u32_e64 v20, s[20:21], 2, v16
	v_subb_co_u32_e32 v11, vcc, v19, v11, vcc
	v_addc_co_u32_e64 v21, s[20:21], 0, v17, s[20:21]
	v_cmp_le_u32_e32 vcc, s39, v11
	v_add_co_u32_e64 v22, s[20:21], 1, v16
	v_cndmask_b32_e64 v19, 0, -1, vcc
	v_cmp_le_u32_e32 vcc, s38, v10
	v_addc_co_u32_e64 v23, s[20:21], 0, v17, s[20:21]
	v_cndmask_b32_e64 v10, 0, -1, vcc
	v_cmp_eq_u32_e32 vcc, s39, v11
	v_cmp_ne_u32_e64 s[20:21], 0, v18
	v_cndmask_b32_e32 v10, v19, v10, vcc
	v_cndmask_b32_e64 v18, v23, v21, s[20:21]
	v_cmp_ne_u32_e32 vcc, 0, v10
	v_cndmask_b32_e64 v11, v22, v20, s[20:21]
	v_cndmask_b32_e32 v10, v17, v18, vcc
	v_cndmask_b32_e32 v11, v16, v11, vcc
	v_xor_b32_e32 v16, v10, v4
	v_xor_b32_e32 v10, v11, v4
	v_sub_co_u32_e32 v10, vcc, v10, v4
	v_subb_co_u32_e32 v11, vcc, v16, v4, vcc
                                        ; implicit-def: $vgpr16
.LBB29_12:                              ;   in Loop: Header=BB29_10 Depth=2
	s_andn2_saveexec_b64 s[20:21], s[36:37]
	s_cbranch_execz .LBB29_14
; %bb.13:                               ;   in Loop: Header=BB29_10 Depth=2
	v_cvt_f32_u32_e32 v4, s26
	v_rcp_iflag_f32_e32 v4, v4
	v_mul_f32_e32 v4, 0x4f7ffffe, v4
	v_cvt_u32_f32_e32 v4, v4
	v_mul_lo_u32 v10, s40, v4
	v_mul_hi_u32 v10, v4, v10
	v_add_u32_e32 v4, v4, v10
	v_mul_hi_u32 v4, v16, v4
	v_mul_lo_u32 v10, v4, s26
	v_add_u32_e32 v11, 1, v4
	v_sub_u32_e32 v10, v16, v10
	v_subrev_u32_e32 v16, s26, v10
	v_cmp_le_u32_e32 vcc, s26, v10
	v_cndmask_b32_e32 v10, v10, v16, vcc
	v_cndmask_b32_e32 v4, v4, v11, vcc
	v_add_u32_e32 v11, 1, v4
	v_cmp_le_u32_e32 vcc, s26, v10
	v_cndmask_b32_e32 v10, v4, v11, vcc
	v_mov_b32_e32 v11, v3
.LBB29_14:                              ;   in Loop: Header=BB29_10 Depth=2
	s_or_b64 exec, exec, s[20:21]
	v_cmp_eq_u64_e32 vcc, v[10:11], v[7:8]
	v_cmp_ne_u64_e64 s[20:21], v[10:11], v[7:8]
	s_and_saveexec_b64 s[36:37], s[20:21]
	s_xor_b64 s[36:37], exec, s[36:37]
; %bb.15:                               ;   in Loop: Header=BB29_10 Depth=2
	v_cmp_lt_i64_e64 s[20:21], v[10:11], v[5:6]
                                        ; implicit-def: $vgpr15
	v_cndmask_b32_e64 v6, v6, v11, s[20:21]
	v_cndmask_b32_e64 v5, v5, v10, s[20:21]
; %bb.16:                               ;   in Loop: Header=BB29_10 Depth=2
	s_or_saveexec_b64 s[20:21], s[36:37]
	v_mov_b32_e32 v4, v9
	s_xor_b64 exec, exec, s[20:21]
	s_cbranch_execz .LBB29_9
; %bb.17:                               ;   in Loop: Header=BB29_10 Depth=2
	v_mov_b32_e32 v4, v15
	ds_write_b8 v3, v14 offset:2056
	s_branch .LBB29_9
.LBB29_18:                              ;   in Loop: Header=BB29_7 Depth=1
	s_or_b64 exec, exec, s[34:35]
.LBB29_19:                              ;   in Loop: Header=BB29_7 Depth=1
	s_or_b64 exec, exec, s[30:31]
	v_mov_b32_dpp v7, v4 row_shr:1 row_mask:0xf bank_mask:0xf
	v_min_i32_e32 v4, v7, v4
	s_waitcnt lgkmcnt(0)
	s_barrier
	v_mov_b32_dpp v7, v4 row_shr:2 row_mask:0xf bank_mask:0xf
	ds_read_u8 v8, v3 offset:2056
	v_min_i32_e32 v4, v7, v4
	s_waitcnt lgkmcnt(0)
	v_readfirstlane_b32 s20, v8
	v_mov_b32_dpp v7, v4 row_shr:4 row_mask:0xf bank_mask:0xe
	v_min_i32_e32 v4, v7, v4
	ds_bpermute_b32 v9, v12, v4
	s_bitcmp1_b32 s20, 0
	s_cselect_b64 s[20:21], -1, 0
	s_and_b64 s[30:31], s[0:1], s[20:21]
	s_and_saveexec_b64 s[20:21], s[30:31]
	s_cbranch_execz .LBB29_21
; %bb.20:                               ;   in Loop: Header=BB29_7 Depth=1
	ds_read_b64 v[7:8], v3 offset:2048
	s_waitcnt lgkmcnt(0)
	v_add_co_u32_e32 v7, vcc, 1, v7
	v_addc_co_u32_e32 v8, vcc, 0, v8, vcc
	ds_write_b64 v3, v[7:8] offset:2048
.LBB29_21:                              ;   in Loop: Header=BB29_7 Depth=1
	s_or_b64 exec, exec, s[20:21]
	ds_write_b64 v13, v[5:6]
	s_waitcnt lgkmcnt(0)
	s_barrier
	s_and_saveexec_b64 s[20:21], s[2:3]
	s_cbranch_execz .LBB29_23
; %bb.22:                               ;   in Loop: Header=BB29_7 Depth=1
	ds_read2st64_b64 v[4:7], v13 offset1:2
	s_waitcnt lgkmcnt(0)
	v_cmp_lt_i64_e32 vcc, v[6:7], v[4:5]
	v_cndmask_b32_e32 v5, v5, v7, vcc
	v_cndmask_b32_e32 v4, v4, v6, vcc
	ds_write_b64 v13, v[4:5]
.LBB29_23:                              ;   in Loop: Header=BB29_7 Depth=1
	s_or_b64 exec, exec, s[20:21]
	s_waitcnt lgkmcnt(0)
	s_barrier
	s_and_saveexec_b64 s[20:21], s[8:9]
	s_cbranch_execz .LBB29_25
; %bb.24:                               ;   in Loop: Header=BB29_7 Depth=1
	ds_read2st64_b64 v[4:7], v13 offset1:1
	s_waitcnt lgkmcnt(0)
	v_cmp_lt_i64_e32 vcc, v[6:7], v[4:5]
	v_cndmask_b32_e32 v5, v5, v7, vcc
	v_cndmask_b32_e32 v4, v4, v6, vcc
	ds_write_b64 v13, v[4:5]
.LBB29_25:                              ;   in Loop: Header=BB29_7 Depth=1
	s_or_b64 exec, exec, s[20:21]
	s_waitcnt lgkmcnt(0)
	s_barrier
	s_and_saveexec_b64 s[20:21], s[10:11]
	s_cbranch_execz .LBB29_27
; %bb.26:                               ;   in Loop: Header=BB29_7 Depth=1
	ds_read2_b64 v[4:7], v13 offset1:32
	s_waitcnt lgkmcnt(0)
	v_cmp_lt_i64_e32 vcc, v[6:7], v[4:5]
	v_cndmask_b32_e32 v5, v5, v7, vcc
	v_cndmask_b32_e32 v4, v4, v6, vcc
	ds_write_b64 v13, v[4:5]
.LBB29_27:                              ;   in Loop: Header=BB29_7 Depth=1
	s_or_b64 exec, exec, s[20:21]
	s_waitcnt lgkmcnt(0)
	s_barrier
	s_and_saveexec_b64 s[20:21], s[12:13]
	s_cbranch_execz .LBB29_29
; %bb.28:                               ;   in Loop: Header=BB29_7 Depth=1
	ds_read2_b64 v[4:7], v13 offset1:16
	s_waitcnt lgkmcnt(0)
	v_cmp_lt_i64_e32 vcc, v[6:7], v[4:5]
	v_cndmask_b32_e32 v5, v5, v7, vcc
	v_cndmask_b32_e32 v4, v4, v6, vcc
	ds_write_b64 v13, v[4:5]
.LBB29_29:                              ;   in Loop: Header=BB29_7 Depth=1
	;; [unrolled: 13-line block ×5, first 2 shown]
	s_or_b64 exec, exec, s[20:21]
	s_waitcnt lgkmcnt(0)
	s_barrier
	s_and_saveexec_b64 s[20:21], s[0:1]
	s_cbranch_execz .LBB29_6
; %bb.36:                               ;   in Loop: Header=BB29_7 Depth=1
	ds_read_b128 v[4:7], v3
	s_waitcnt lgkmcnt(0)
	v_cmp_lt_i64_e32 vcc, v[6:7], v[4:5]
	v_cndmask_b32_e32 v5, v5, v7, vcc
	v_cndmask_b32_e32 v4, v4, v6, vcc
	ds_write_b64 v3, v[4:5]
	s_branch .LBB29_6
.LBB29_37:
	v_cmp_eq_u32_e32 vcc, 0, v0
	s_and_saveexec_b64 s[0:1], vcc
	s_cbranch_execz .LBB29_39
; %bb.38:
	s_load_dwordx2 s[0:1], s[4:5], 0x48
	s_load_dword s8, s[4:5], 0x40
	v_mov_b32_e32 v0, 0
	ds_read_b32 v1, v0 offset:2048
	s_lshl_b64 s[2:3], s[6:7], 2
	s_waitcnt lgkmcnt(0)
	s_add_u32 s2, s0, s2
	v_mov_b32_e32 v2, s8
	s_addc_u32 s3, s1, s3
	global_store_dword v0, v2, s[0:1]
	global_store_dword v0, v1, s[2:3] offset:4
.LBB29_39:
	s_endpgm
	.section	.rodata,"a",@progbits
	.p2align	6, 0x0
	.amdhsa_kernel _ZN9rocsparseL42csr2bsr_nnz_block_per_row_multipass_kernelILj256ELj32EilEEvT2_S1_S1_S1_S1_21rocsparse_index_base_PKT1_PKS1_S2_PS3_
		.amdhsa_group_segment_fixed_size 2064
		.amdhsa_private_segment_fixed_size 0
		.amdhsa_kernarg_size 80
		.amdhsa_user_sgpr_count 6
		.amdhsa_user_sgpr_private_segment_buffer 1
		.amdhsa_user_sgpr_dispatch_ptr 0
		.amdhsa_user_sgpr_queue_ptr 0
		.amdhsa_user_sgpr_kernarg_segment_ptr 1
		.amdhsa_user_sgpr_dispatch_id 0
		.amdhsa_user_sgpr_flat_scratch_init 0
		.amdhsa_user_sgpr_private_segment_size 0
		.amdhsa_uses_dynamic_stack 0
		.amdhsa_system_sgpr_private_segment_wavefront_offset 0
		.amdhsa_system_sgpr_workgroup_id_x 1
		.amdhsa_system_sgpr_workgroup_id_y 0
		.amdhsa_system_sgpr_workgroup_id_z 0
		.amdhsa_system_sgpr_workgroup_info 0
		.amdhsa_system_vgpr_workitem_id 0
		.amdhsa_next_free_vgpr 24
		.amdhsa_next_free_sgpr 48
		.amdhsa_reserve_vcc 1
		.amdhsa_reserve_flat_scratch 0
		.amdhsa_float_round_mode_32 0
		.amdhsa_float_round_mode_16_64 0
		.amdhsa_float_denorm_mode_32 3
		.amdhsa_float_denorm_mode_16_64 3
		.amdhsa_dx10_clamp 1
		.amdhsa_ieee_mode 1
		.amdhsa_fp16_overflow 0
		.amdhsa_exception_fp_ieee_invalid_op 0
		.amdhsa_exception_fp_denorm_src 0
		.amdhsa_exception_fp_ieee_div_zero 0
		.amdhsa_exception_fp_ieee_overflow 0
		.amdhsa_exception_fp_ieee_underflow 0
		.amdhsa_exception_fp_ieee_inexact 0
		.amdhsa_exception_int_div_zero 0
	.end_amdhsa_kernel
	.section	.text._ZN9rocsparseL42csr2bsr_nnz_block_per_row_multipass_kernelILj256ELj32EilEEvT2_S1_S1_S1_S1_21rocsparse_index_base_PKT1_PKS1_S2_PS3_,"axG",@progbits,_ZN9rocsparseL42csr2bsr_nnz_block_per_row_multipass_kernelILj256ELj32EilEEvT2_S1_S1_S1_S1_21rocsparse_index_base_PKT1_PKS1_S2_PS3_,comdat
.Lfunc_end29:
	.size	_ZN9rocsparseL42csr2bsr_nnz_block_per_row_multipass_kernelILj256ELj32EilEEvT2_S1_S1_S1_S1_21rocsparse_index_base_PKT1_PKS1_S2_PS3_, .Lfunc_end29-_ZN9rocsparseL42csr2bsr_nnz_block_per_row_multipass_kernelILj256ELj32EilEEvT2_S1_S1_S1_S1_21rocsparse_index_base_PKT1_PKS1_S2_PS3_
                                        ; -- End function
	.set _ZN9rocsparseL42csr2bsr_nnz_block_per_row_multipass_kernelILj256ELj32EilEEvT2_S1_S1_S1_S1_21rocsparse_index_base_PKT1_PKS1_S2_PS3_.num_vgpr, 24
	.set _ZN9rocsparseL42csr2bsr_nnz_block_per_row_multipass_kernelILj256ELj32EilEEvT2_S1_S1_S1_S1_21rocsparse_index_base_PKT1_PKS1_S2_PS3_.num_agpr, 0
	.set _ZN9rocsparseL42csr2bsr_nnz_block_per_row_multipass_kernelILj256ELj32EilEEvT2_S1_S1_S1_S1_21rocsparse_index_base_PKT1_PKS1_S2_PS3_.numbered_sgpr, 48
	.set _ZN9rocsparseL42csr2bsr_nnz_block_per_row_multipass_kernelILj256ELj32EilEEvT2_S1_S1_S1_S1_21rocsparse_index_base_PKT1_PKS1_S2_PS3_.num_named_barrier, 0
	.set _ZN9rocsparseL42csr2bsr_nnz_block_per_row_multipass_kernelILj256ELj32EilEEvT2_S1_S1_S1_S1_21rocsparse_index_base_PKT1_PKS1_S2_PS3_.private_seg_size, 0
	.set _ZN9rocsparseL42csr2bsr_nnz_block_per_row_multipass_kernelILj256ELj32EilEEvT2_S1_S1_S1_S1_21rocsparse_index_base_PKT1_PKS1_S2_PS3_.uses_vcc, 1
	.set _ZN9rocsparseL42csr2bsr_nnz_block_per_row_multipass_kernelILj256ELj32EilEEvT2_S1_S1_S1_S1_21rocsparse_index_base_PKT1_PKS1_S2_PS3_.uses_flat_scratch, 0
	.set _ZN9rocsparseL42csr2bsr_nnz_block_per_row_multipass_kernelILj256ELj32EilEEvT2_S1_S1_S1_S1_21rocsparse_index_base_PKT1_PKS1_S2_PS3_.has_dyn_sized_stack, 0
	.set _ZN9rocsparseL42csr2bsr_nnz_block_per_row_multipass_kernelILj256ELj32EilEEvT2_S1_S1_S1_S1_21rocsparse_index_base_PKT1_PKS1_S2_PS3_.has_recursion, 0
	.set _ZN9rocsparseL42csr2bsr_nnz_block_per_row_multipass_kernelILj256ELj32EilEEvT2_S1_S1_S1_S1_21rocsparse_index_base_PKT1_PKS1_S2_PS3_.has_indirect_call, 0
	.section	.AMDGPU.csdata,"",@progbits
; Kernel info:
; codeLenInByte = 1996
; TotalNumSgprs: 52
; NumVgprs: 24
; ScratchSize: 0
; MemoryBound: 0
; FloatMode: 240
; IeeeMode: 1
; LDSByteSize: 2064 bytes/workgroup (compile time only)
; SGPRBlocks: 6
; VGPRBlocks: 5
; NumSGPRsForWavesPerEU: 52
; NumVGPRsForWavesPerEU: 24
; Occupancy: 10
; WaveLimiterHint : 0
; COMPUTE_PGM_RSRC2:SCRATCH_EN: 0
; COMPUTE_PGM_RSRC2:USER_SGPR: 6
; COMPUTE_PGM_RSRC2:TRAP_HANDLER: 0
; COMPUTE_PGM_RSRC2:TGID_X_EN: 1
; COMPUTE_PGM_RSRC2:TGID_Y_EN: 0
; COMPUTE_PGM_RSRC2:TGID_Z_EN: 0
; COMPUTE_PGM_RSRC2:TIDIG_COMP_CNT: 0
	.section	.text._ZN9rocsparseL42csr2bsr_nnz_block_per_row_multipass_kernelILj256ELj64EilEEvT2_S1_S1_S1_S1_21rocsparse_index_base_PKT1_PKS1_S2_PS3_,"axG",@progbits,_ZN9rocsparseL42csr2bsr_nnz_block_per_row_multipass_kernelILj256ELj64EilEEvT2_S1_S1_S1_S1_21rocsparse_index_base_PKT1_PKS1_S2_PS3_,comdat
	.globl	_ZN9rocsparseL42csr2bsr_nnz_block_per_row_multipass_kernelILj256ELj64EilEEvT2_S1_S1_S1_S1_21rocsparse_index_base_PKT1_PKS1_S2_PS3_ ; -- Begin function _ZN9rocsparseL42csr2bsr_nnz_block_per_row_multipass_kernelILj256ELj64EilEEvT2_S1_S1_S1_S1_21rocsparse_index_base_PKT1_PKS1_S2_PS3_
	.p2align	8
	.type	_ZN9rocsparseL42csr2bsr_nnz_block_per_row_multipass_kernelILj256ELj64EilEEvT2_S1_S1_S1_S1_21rocsparse_index_base_PKT1_PKS1_S2_PS3_,@function
_ZN9rocsparseL42csr2bsr_nnz_block_per_row_multipass_kernelILj256ELj64EilEEvT2_S1_S1_S1_S1_21rocsparse_index_base_PKT1_PKS1_S2_PS3_: ; @_ZN9rocsparseL42csr2bsr_nnz_block_per_row_multipass_kernelILj256ELj64EilEEvT2_S1_S1_S1_S1_21rocsparse_index_base_PKT1_PKS1_S2_PS3_
; %bb.0:
	s_load_dwordx2 s[0:1], s[4:5], 0x0
	s_load_dwordx4 s[24:27], s[4:5], 0x18
	s_load_dword s33, s[4:5], 0x28
	s_load_dwordx2 s[2:3], s[4:5], 0x30
	v_lshrrev_b32_e32 v1, 2, v0
	v_mov_b32_e32 v2, 0
	v_mov_b32_e32 v3, s6
	s_waitcnt lgkmcnt(0)
	v_mad_u64_u32 v[3:4], s[8:9], s26, v3, v[1:2]
	s_ashr_i32 s7, s6, 31
	s_mul_i32 s8, s27, s6
	s_mul_i32 s9, s26, s7
	s_add_i32 s9, s9, s8
	v_add_u32_e32 v4, s9, v4
	v_cmp_gt_i64_e32 vcc, s[0:1], v[3:4]
	v_cmp_gt_i64_e64 s[0:1], s[26:27], v[1:2]
	v_mov_b32_e32 v5, v2
	v_mov_b32_e32 v6, v2
	s_and_b64 s[0:1], s[0:1], vcc
	v_mov_b32_e32 v9, 0
	ds_write_b64 v2, v[5:6] offset:2048
	s_waitcnt lgkmcnt(0)
	s_barrier
	s_and_saveexec_b64 s[8:9], s[0:1]
	s_cbranch_execz .LBB30_2
; %bb.1:
	v_lshlrev_b64 v[5:6], 2, v[3:4]
	v_mov_b32_e32 v1, s3
	v_add_co_u32_e32 v5, vcc, s2, v5
	v_addc_co_u32_e32 v6, vcc, v1, v6, vcc
	global_load_dword v1, v[5:6], off
	s_waitcnt vmcnt(0)
	v_subrev_u32_e32 v9, s33, v1
.LBB30_2:
	s_or_b64 exec, exec, s[8:9]
	s_and_saveexec_b64 s[8:9], s[0:1]
	s_cbranch_execz .LBB30_4
; %bb.3:
	v_lshlrev_b64 v[1:2], 2, v[3:4]
	v_mov_b32_e32 v3, s3
	v_add_co_u32_e32 v1, vcc, s2, v1
	v_addc_co_u32_e32 v2, vcc, v3, v2, vcc
	global_load_dword v1, v[1:2], off offset:4
	s_waitcnt vmcnt(0)
	v_subrev_u32_e32 v2, s33, v1
.LBB30_4:
	s_or_b64 exec, exec, s[8:9]
	v_cmp_lt_i64_e64 s[0:1], s[24:25], 1
	s_and_b64 vcc, exec, s[0:1]
	v_cmp_eq_u32_e64 s[0:1], 0, v0
	s_cbranch_vccnz .LBB30_37
; %bb.5:
	s_load_dwordx2 s[22:23], s[4:5], 0x38
	v_mbcnt_lo_u32_b32 v3, -1, 0
	v_mbcnt_hi_u32_b32 v3, -1, v3
	s_movk_i32 s2, 0x80
	v_mov_b32_e32 v7, 0
	v_and_b32_e32 v1, 3, v0
	v_lshl_or_b32 v12, v3, 2, 12
	v_lshlrev_b32_e32 v13, 3, v0
	v_cmp_gt_u32_e64 s[2:3], s2, v0
	v_cmp_gt_u32_e64 s[8:9], 64, v0
	;; [unrolled: 1-line block ×7, first 2 shown]
	v_mov_b32_e32 v8, 0
	v_mov_b32_e32 v3, 0
	;; [unrolled: 1-line block ×3, first 2 shown]
	s_ashr_i32 s28, s27, 31
	s_sub_i32 s40, 0, s26
	s_branch .LBB30_7
.LBB30_6:                               ;   in Loop: Header=BB30_7 Depth=1
	s_or_b64 exec, exec, s[20:21]
	s_waitcnt lgkmcnt(0)
	s_barrier
	ds_read_b32 v7, v3
	s_waitcnt lgkmcnt(0)
	s_barrier
	v_ashrrev_i32_e32 v8, 31, v7
	v_cmp_gt_i64_e32 vcc, s[24:25], v[7:8]
	s_cbranch_vccz .LBB30_37
.LBB30_7:                               ; =>This Loop Header: Depth=1
                                        ;     Child Loop BB30_10 Depth 2
	v_add_u32_e32 v9, v9, v1
	v_mov_b32_e32 v5, s24
	v_cmp_lt_i32_e32 vcc, v9, v2
	v_mov_b32_e32 v6, s25
	v_mov_b32_e32 v4, v2
	ds_write_b8 v3, v3 offset:2056
	s_waitcnt lgkmcnt(0)
	s_barrier
	s_and_saveexec_b64 s[30:31], vcc
	s_cbranch_execz .LBB30_19
; %bb.8:                                ;   in Loop: Header=BB30_7 Depth=1
	v_mov_b32_e32 v5, s24
	s_mov_b64 s[34:35], 0
	v_mov_b32_e32 v6, s25
	v_mov_b32_e32 v15, v2
	s_branch .LBB30_10
.LBB30_9:                               ;   in Loop: Header=BB30_10 Depth=2
	s_or_b64 exec, exec, s[20:21]
	v_add_u32_e32 v9, 4, v9
	v_cmp_ge_i32_e64 s[20:21], v9, v2
	s_xor_b64 s[36:37], vcc, -1
	s_or_b64 s[20:21], s[36:37], s[20:21]
	s_and_b64 s[20:21], exec, s[20:21]
	s_or_b64 s[34:35], s[20:21], s[34:35]
	v_mov_b32_e32 v15, v4
	s_andn2_b64 exec, exec, s[34:35]
	s_cbranch_execz .LBB30_18
.LBB30_10:                              ;   Parent Loop BB30_7 Depth=1
                                        ; =>  This Inner Loop Header: Depth=2
	v_ashrrev_i32_e32 v10, 31, v9
	v_lshlrev_b64 v[10:11], 3, v[9:10]
	v_mov_b32_e32 v4, s23
	v_add_co_u32_e32 v10, vcc, s22, v10
	v_addc_co_u32_e32 v11, vcc, v4, v11, vcc
	global_load_dwordx2 v[10:11], v[10:11], off
	s_waitcnt vmcnt(0)
	v_subrev_co_u32_e32 v16, vcc, s33, v10
	v_subbrev_co_u32_e32 v17, vcc, 0, v11, vcc
	v_or_b32_e32 v4, s27, v17
	v_cmp_ne_u64_e32 vcc, 0, v[3:4]
                                        ; implicit-def: $vgpr10_vgpr11
	s_and_saveexec_b64 s[20:21], vcc
	s_xor_b64 s[36:37], exec, s[20:21]
	s_cbranch_execz .LBB30_12
; %bb.11:                               ;   in Loop: Header=BB30_10 Depth=2
	s_add_u32 s20, s26, s28
	s_mov_b32 s29, s28
	s_addc_u32 s21, s27, s28
	s_xor_b64 s[38:39], s[20:21], s[28:29]
	v_cvt_f32_u32_e32 v4, s38
	v_cvt_f32_u32_e32 v10, s39
	s_sub_u32 s29, 0, s38
	s_subb_u32 s41, 0, s39
	v_mac_f32_e32 v4, 0x4f800000, v10
	v_rcp_f32_e32 v4, v4
	v_mul_f32_e32 v4, 0x5f7ffffc, v4
	v_mul_f32_e32 v10, 0x2f800000, v4
	v_trunc_f32_e32 v10, v10
	v_mac_f32_e32 v4, 0xcf800000, v10
	v_cvt_u32_f32_e32 v10, v10
	v_cvt_u32_f32_e32 v4, v4
	v_readfirstlane_b32 s42, v10
	v_readfirstlane_b32 s20, v4
	s_mul_i32 s21, s29, s42
	s_mul_hi_u32 s44, s29, s20
	s_mul_i32 s43, s41, s20
	s_add_i32 s21, s44, s21
	s_add_i32 s21, s21, s43
	s_mul_i32 s45, s29, s20
	s_mul_i32 s44, s20, s21
	s_mul_hi_u32 s46, s20, s45
	s_mul_hi_u32 s43, s20, s21
	s_add_u32 s44, s46, s44
	s_addc_u32 s43, 0, s43
	s_mul_hi_u32 s47, s42, s45
	s_mul_i32 s45, s42, s45
	s_add_u32 s44, s44, s45
	s_mul_hi_u32 s46, s42, s21
	s_addc_u32 s43, s43, s47
	s_addc_u32 s44, s46, 0
	s_mul_i32 s21, s42, s21
	s_add_u32 s21, s43, s21
	s_addc_u32 s43, 0, s44
	s_add_u32 s44, s20, s21
	s_cselect_b64 s[20:21], -1, 0
	s_cmp_lg_u64 s[20:21], 0
	s_addc_u32 s42, s42, s43
	s_mul_i32 s20, s29, s42
	s_mul_hi_u32 s21, s29, s44
	s_add_i32 s20, s21, s20
	s_mul_i32 s41, s41, s44
	s_add_i32 s20, s20, s41
	s_mul_i32 s29, s29, s44
	s_mul_hi_u32 s41, s42, s29
	s_mul_i32 s43, s42, s29
	s_mul_i32 s46, s44, s20
	s_mul_hi_u32 s29, s44, s29
	s_mul_hi_u32 s45, s44, s20
	s_add_u32 s29, s29, s46
	s_addc_u32 s45, 0, s45
	s_add_u32 s29, s29, s43
	s_mul_hi_u32 s21, s42, s20
	s_addc_u32 s29, s45, s41
	s_addc_u32 s21, s21, 0
	s_mul_i32 s20, s42, s20
	s_add_u32 s20, s29, s20
	s_addc_u32 s29, 0, s21
	s_add_u32 s41, s44, s20
	s_cselect_b64 s[20:21], -1, 0
	v_ashrrev_i32_e32 v4, 31, v17
	s_cmp_lg_u64 s[20:21], 0
	v_add_co_u32_e32 v10, vcc, v16, v4
	s_addc_u32 s29, s42, s29
	v_xor_b32_e32 v18, v10, v4
	v_addc_co_u32_e32 v16, vcc, v17, v4, vcc
	v_mad_u64_u32 v[10:11], s[20:21], v18, s29, 0
	v_mul_hi_u32 v17, v18, s41
	v_xor_b32_e32 v19, v16, v4
	v_xor_b32_e32 v4, s28, v4
	v_add_co_u32_e32 v20, vcc, v17, v10
	v_addc_co_u32_e32 v21, vcc, 0, v11, vcc
	v_mad_u64_u32 v[10:11], s[20:21], v19, s41, 0
	v_mad_u64_u32 v[16:17], s[20:21], v19, s29, 0
	v_add_co_u32_e32 v10, vcc, v20, v10
	v_addc_co_u32_e32 v10, vcc, v21, v11, vcc
	v_addc_co_u32_e32 v11, vcc, 0, v17, vcc
	v_add_co_u32_e32 v16, vcc, v10, v16
	v_addc_co_u32_e32 v17, vcc, 0, v11, vcc
	v_mul_lo_u32 v20, s39, v16
	v_mul_lo_u32 v21, s38, v17
	v_mad_u64_u32 v[10:11], s[20:21], s38, v16, 0
	v_add3_u32 v11, v11, v21, v20
	v_sub_u32_e32 v20, v19, v11
	v_mov_b32_e32 v21, s39
	v_sub_co_u32_e32 v10, vcc, v18, v10
	v_subb_co_u32_e64 v18, s[20:21], v20, v21, vcc
	v_subrev_co_u32_e64 v20, s[20:21], s38, v10
	v_subbrev_co_u32_e64 v18, s[20:21], 0, v18, s[20:21]
	v_cmp_le_u32_e64 s[20:21], s39, v18
	v_cndmask_b32_e64 v21, 0, -1, s[20:21]
	v_cmp_le_u32_e64 s[20:21], s38, v20
	v_cndmask_b32_e64 v20, 0, -1, s[20:21]
	v_cmp_eq_u32_e64 s[20:21], s39, v18
	v_cndmask_b32_e64 v18, v21, v20, s[20:21]
	v_add_co_u32_e64 v20, s[20:21], 2, v16
	v_subb_co_u32_e32 v11, vcc, v19, v11, vcc
	v_addc_co_u32_e64 v21, s[20:21], 0, v17, s[20:21]
	v_cmp_le_u32_e32 vcc, s39, v11
	v_add_co_u32_e64 v22, s[20:21], 1, v16
	v_cndmask_b32_e64 v19, 0, -1, vcc
	v_cmp_le_u32_e32 vcc, s38, v10
	v_addc_co_u32_e64 v23, s[20:21], 0, v17, s[20:21]
	v_cndmask_b32_e64 v10, 0, -1, vcc
	v_cmp_eq_u32_e32 vcc, s39, v11
	v_cmp_ne_u32_e64 s[20:21], 0, v18
	v_cndmask_b32_e32 v10, v19, v10, vcc
	v_cndmask_b32_e64 v18, v23, v21, s[20:21]
	v_cmp_ne_u32_e32 vcc, 0, v10
	v_cndmask_b32_e64 v11, v22, v20, s[20:21]
	v_cndmask_b32_e32 v10, v17, v18, vcc
	v_cndmask_b32_e32 v11, v16, v11, vcc
	v_xor_b32_e32 v16, v10, v4
	v_xor_b32_e32 v10, v11, v4
	v_sub_co_u32_e32 v10, vcc, v10, v4
	v_subb_co_u32_e32 v11, vcc, v16, v4, vcc
                                        ; implicit-def: $vgpr16
.LBB30_12:                              ;   in Loop: Header=BB30_10 Depth=2
	s_andn2_saveexec_b64 s[20:21], s[36:37]
	s_cbranch_execz .LBB30_14
; %bb.13:                               ;   in Loop: Header=BB30_10 Depth=2
	v_cvt_f32_u32_e32 v4, s26
	v_rcp_iflag_f32_e32 v4, v4
	v_mul_f32_e32 v4, 0x4f7ffffe, v4
	v_cvt_u32_f32_e32 v4, v4
	v_mul_lo_u32 v10, s40, v4
	v_mul_hi_u32 v10, v4, v10
	v_add_u32_e32 v4, v4, v10
	v_mul_hi_u32 v4, v16, v4
	v_mul_lo_u32 v10, v4, s26
	v_add_u32_e32 v11, 1, v4
	v_sub_u32_e32 v10, v16, v10
	v_subrev_u32_e32 v16, s26, v10
	v_cmp_le_u32_e32 vcc, s26, v10
	v_cndmask_b32_e32 v10, v10, v16, vcc
	v_cndmask_b32_e32 v4, v4, v11, vcc
	v_add_u32_e32 v11, 1, v4
	v_cmp_le_u32_e32 vcc, s26, v10
	v_cndmask_b32_e32 v10, v4, v11, vcc
	v_mov_b32_e32 v11, v3
.LBB30_14:                              ;   in Loop: Header=BB30_10 Depth=2
	s_or_b64 exec, exec, s[20:21]
	v_cmp_eq_u64_e32 vcc, v[10:11], v[7:8]
	v_cmp_ne_u64_e64 s[20:21], v[10:11], v[7:8]
	s_and_saveexec_b64 s[36:37], s[20:21]
	s_xor_b64 s[36:37], exec, s[36:37]
; %bb.15:                               ;   in Loop: Header=BB30_10 Depth=2
	v_cmp_lt_i64_e64 s[20:21], v[10:11], v[5:6]
                                        ; implicit-def: $vgpr15
	v_cndmask_b32_e64 v6, v6, v11, s[20:21]
	v_cndmask_b32_e64 v5, v5, v10, s[20:21]
; %bb.16:                               ;   in Loop: Header=BB30_10 Depth=2
	s_or_saveexec_b64 s[20:21], s[36:37]
	v_mov_b32_e32 v4, v9
	s_xor_b64 exec, exec, s[20:21]
	s_cbranch_execz .LBB30_9
; %bb.17:                               ;   in Loop: Header=BB30_10 Depth=2
	v_mov_b32_e32 v4, v15
	ds_write_b8 v3, v14 offset:2056
	s_branch .LBB30_9
.LBB30_18:                              ;   in Loop: Header=BB30_7 Depth=1
	s_or_b64 exec, exec, s[34:35]
.LBB30_19:                              ;   in Loop: Header=BB30_7 Depth=1
	s_or_b64 exec, exec, s[30:31]
	s_waitcnt lgkmcnt(0)
	s_barrier
	v_mov_b32_dpp v7, v4 row_shr:1 row_mask:0xf bank_mask:0xf
	ds_read_u8 v8, v3 offset:2056
	v_min_i32_e32 v4, v7, v4
	s_waitcnt lgkmcnt(0)
	v_readfirstlane_b32 s20, v8
	v_mov_b32_dpp v7, v4 row_shr:2 row_mask:0xf bank_mask:0xf
	v_min_i32_e32 v4, v7, v4
	ds_bpermute_b32 v9, v12, v4
	s_bitcmp1_b32 s20, 0
	s_cselect_b64 s[20:21], -1, 0
	s_and_b64 s[30:31], s[0:1], s[20:21]
	s_and_saveexec_b64 s[20:21], s[30:31]
	s_cbranch_execz .LBB30_21
; %bb.20:                               ;   in Loop: Header=BB30_7 Depth=1
	ds_read_b64 v[7:8], v3 offset:2048
	s_waitcnt lgkmcnt(0)
	v_add_co_u32_e32 v7, vcc, 1, v7
	v_addc_co_u32_e32 v8, vcc, 0, v8, vcc
	ds_write_b64 v3, v[7:8] offset:2048
.LBB30_21:                              ;   in Loop: Header=BB30_7 Depth=1
	s_or_b64 exec, exec, s[20:21]
	ds_write_b64 v13, v[5:6]
	s_waitcnt lgkmcnt(0)
	s_barrier
	s_and_saveexec_b64 s[20:21], s[2:3]
	s_cbranch_execz .LBB30_23
; %bb.22:                               ;   in Loop: Header=BB30_7 Depth=1
	ds_read2st64_b64 v[4:7], v13 offset1:2
	s_waitcnt lgkmcnt(0)
	v_cmp_lt_i64_e32 vcc, v[6:7], v[4:5]
	v_cndmask_b32_e32 v5, v5, v7, vcc
	v_cndmask_b32_e32 v4, v4, v6, vcc
	ds_write_b64 v13, v[4:5]
.LBB30_23:                              ;   in Loop: Header=BB30_7 Depth=1
	s_or_b64 exec, exec, s[20:21]
	s_waitcnt lgkmcnt(0)
	s_barrier
	s_and_saveexec_b64 s[20:21], s[8:9]
	s_cbranch_execz .LBB30_25
; %bb.24:                               ;   in Loop: Header=BB30_7 Depth=1
	ds_read2st64_b64 v[4:7], v13 offset1:1
	s_waitcnt lgkmcnt(0)
	v_cmp_lt_i64_e32 vcc, v[6:7], v[4:5]
	v_cndmask_b32_e32 v5, v5, v7, vcc
	v_cndmask_b32_e32 v4, v4, v6, vcc
	ds_write_b64 v13, v[4:5]
.LBB30_25:                              ;   in Loop: Header=BB30_7 Depth=1
	s_or_b64 exec, exec, s[20:21]
	s_waitcnt lgkmcnt(0)
	s_barrier
	s_and_saveexec_b64 s[20:21], s[10:11]
	s_cbranch_execz .LBB30_27
; %bb.26:                               ;   in Loop: Header=BB30_7 Depth=1
	ds_read2_b64 v[4:7], v13 offset1:32
	s_waitcnt lgkmcnt(0)
	v_cmp_lt_i64_e32 vcc, v[6:7], v[4:5]
	v_cndmask_b32_e32 v5, v5, v7, vcc
	v_cndmask_b32_e32 v4, v4, v6, vcc
	ds_write_b64 v13, v[4:5]
.LBB30_27:                              ;   in Loop: Header=BB30_7 Depth=1
	s_or_b64 exec, exec, s[20:21]
	s_waitcnt lgkmcnt(0)
	s_barrier
	s_and_saveexec_b64 s[20:21], s[12:13]
	s_cbranch_execz .LBB30_29
; %bb.28:                               ;   in Loop: Header=BB30_7 Depth=1
	ds_read2_b64 v[4:7], v13 offset1:16
	s_waitcnt lgkmcnt(0)
	v_cmp_lt_i64_e32 vcc, v[6:7], v[4:5]
	v_cndmask_b32_e32 v5, v5, v7, vcc
	v_cndmask_b32_e32 v4, v4, v6, vcc
	ds_write_b64 v13, v[4:5]
.LBB30_29:                              ;   in Loop: Header=BB30_7 Depth=1
	;; [unrolled: 13-line block ×5, first 2 shown]
	s_or_b64 exec, exec, s[20:21]
	s_waitcnt lgkmcnt(0)
	s_barrier
	s_and_saveexec_b64 s[20:21], s[0:1]
	s_cbranch_execz .LBB30_6
; %bb.36:                               ;   in Loop: Header=BB30_7 Depth=1
	ds_read_b128 v[4:7], v3
	s_waitcnt lgkmcnt(0)
	v_cmp_lt_i64_e32 vcc, v[6:7], v[4:5]
	v_cndmask_b32_e32 v5, v5, v7, vcc
	v_cndmask_b32_e32 v4, v4, v6, vcc
	ds_write_b64 v3, v[4:5]
	s_branch .LBB30_6
.LBB30_37:
	v_cmp_eq_u32_e32 vcc, 0, v0
	s_and_saveexec_b64 s[0:1], vcc
	s_cbranch_execz .LBB30_39
; %bb.38:
	s_load_dwordx2 s[0:1], s[4:5], 0x48
	s_load_dword s8, s[4:5], 0x40
	v_mov_b32_e32 v0, 0
	ds_read_b32 v1, v0 offset:2048
	s_lshl_b64 s[2:3], s[6:7], 2
	s_waitcnt lgkmcnt(0)
	s_add_u32 s2, s0, s2
	v_mov_b32_e32 v2, s8
	s_addc_u32 s3, s1, s3
	global_store_dword v0, v2, s[0:1]
	global_store_dword v0, v1, s[2:3] offset:4
.LBB30_39:
	s_endpgm
	.section	.rodata,"a",@progbits
	.p2align	6, 0x0
	.amdhsa_kernel _ZN9rocsparseL42csr2bsr_nnz_block_per_row_multipass_kernelILj256ELj64EilEEvT2_S1_S1_S1_S1_21rocsparse_index_base_PKT1_PKS1_S2_PS3_
		.amdhsa_group_segment_fixed_size 2064
		.amdhsa_private_segment_fixed_size 0
		.amdhsa_kernarg_size 80
		.amdhsa_user_sgpr_count 6
		.amdhsa_user_sgpr_private_segment_buffer 1
		.amdhsa_user_sgpr_dispatch_ptr 0
		.amdhsa_user_sgpr_queue_ptr 0
		.amdhsa_user_sgpr_kernarg_segment_ptr 1
		.amdhsa_user_sgpr_dispatch_id 0
		.amdhsa_user_sgpr_flat_scratch_init 0
		.amdhsa_user_sgpr_private_segment_size 0
		.amdhsa_uses_dynamic_stack 0
		.amdhsa_system_sgpr_private_segment_wavefront_offset 0
		.amdhsa_system_sgpr_workgroup_id_x 1
		.amdhsa_system_sgpr_workgroup_id_y 0
		.amdhsa_system_sgpr_workgroup_id_z 0
		.amdhsa_system_sgpr_workgroup_info 0
		.amdhsa_system_vgpr_workitem_id 0
		.amdhsa_next_free_vgpr 24
		.amdhsa_next_free_sgpr 48
		.amdhsa_reserve_vcc 1
		.amdhsa_reserve_flat_scratch 0
		.amdhsa_float_round_mode_32 0
		.amdhsa_float_round_mode_16_64 0
		.amdhsa_float_denorm_mode_32 3
		.amdhsa_float_denorm_mode_16_64 3
		.amdhsa_dx10_clamp 1
		.amdhsa_ieee_mode 1
		.amdhsa_fp16_overflow 0
		.amdhsa_exception_fp_ieee_invalid_op 0
		.amdhsa_exception_fp_denorm_src 0
		.amdhsa_exception_fp_ieee_div_zero 0
		.amdhsa_exception_fp_ieee_overflow 0
		.amdhsa_exception_fp_ieee_underflow 0
		.amdhsa_exception_fp_ieee_inexact 0
		.amdhsa_exception_int_div_zero 0
	.end_amdhsa_kernel
	.section	.text._ZN9rocsparseL42csr2bsr_nnz_block_per_row_multipass_kernelILj256ELj64EilEEvT2_S1_S1_S1_S1_21rocsparse_index_base_PKT1_PKS1_S2_PS3_,"axG",@progbits,_ZN9rocsparseL42csr2bsr_nnz_block_per_row_multipass_kernelILj256ELj64EilEEvT2_S1_S1_S1_S1_21rocsparse_index_base_PKT1_PKS1_S2_PS3_,comdat
.Lfunc_end30:
	.size	_ZN9rocsparseL42csr2bsr_nnz_block_per_row_multipass_kernelILj256ELj64EilEEvT2_S1_S1_S1_S1_21rocsparse_index_base_PKT1_PKS1_S2_PS3_, .Lfunc_end30-_ZN9rocsparseL42csr2bsr_nnz_block_per_row_multipass_kernelILj256ELj64EilEEvT2_S1_S1_S1_S1_21rocsparse_index_base_PKT1_PKS1_S2_PS3_
                                        ; -- End function
	.set _ZN9rocsparseL42csr2bsr_nnz_block_per_row_multipass_kernelILj256ELj64EilEEvT2_S1_S1_S1_S1_21rocsparse_index_base_PKT1_PKS1_S2_PS3_.num_vgpr, 24
	.set _ZN9rocsparseL42csr2bsr_nnz_block_per_row_multipass_kernelILj256ELj64EilEEvT2_S1_S1_S1_S1_21rocsparse_index_base_PKT1_PKS1_S2_PS3_.num_agpr, 0
	.set _ZN9rocsparseL42csr2bsr_nnz_block_per_row_multipass_kernelILj256ELj64EilEEvT2_S1_S1_S1_S1_21rocsparse_index_base_PKT1_PKS1_S2_PS3_.numbered_sgpr, 48
	.set _ZN9rocsparseL42csr2bsr_nnz_block_per_row_multipass_kernelILj256ELj64EilEEvT2_S1_S1_S1_S1_21rocsparse_index_base_PKT1_PKS1_S2_PS3_.num_named_barrier, 0
	.set _ZN9rocsparseL42csr2bsr_nnz_block_per_row_multipass_kernelILj256ELj64EilEEvT2_S1_S1_S1_S1_21rocsparse_index_base_PKT1_PKS1_S2_PS3_.private_seg_size, 0
	.set _ZN9rocsparseL42csr2bsr_nnz_block_per_row_multipass_kernelILj256ELj64EilEEvT2_S1_S1_S1_S1_21rocsparse_index_base_PKT1_PKS1_S2_PS3_.uses_vcc, 1
	.set _ZN9rocsparseL42csr2bsr_nnz_block_per_row_multipass_kernelILj256ELj64EilEEvT2_S1_S1_S1_S1_21rocsparse_index_base_PKT1_PKS1_S2_PS3_.uses_flat_scratch, 0
	.set _ZN9rocsparseL42csr2bsr_nnz_block_per_row_multipass_kernelILj256ELj64EilEEvT2_S1_S1_S1_S1_21rocsparse_index_base_PKT1_PKS1_S2_PS3_.has_dyn_sized_stack, 0
	.set _ZN9rocsparseL42csr2bsr_nnz_block_per_row_multipass_kernelILj256ELj64EilEEvT2_S1_S1_S1_S1_21rocsparse_index_base_PKT1_PKS1_S2_PS3_.has_recursion, 0
	.set _ZN9rocsparseL42csr2bsr_nnz_block_per_row_multipass_kernelILj256ELj64EilEEvT2_S1_S1_S1_S1_21rocsparse_index_base_PKT1_PKS1_S2_PS3_.has_indirect_call, 0
	.section	.AMDGPU.csdata,"",@progbits
; Kernel info:
; codeLenInByte = 1984
; TotalNumSgprs: 52
; NumVgprs: 24
; ScratchSize: 0
; MemoryBound: 0
; FloatMode: 240
; IeeeMode: 1
; LDSByteSize: 2064 bytes/workgroup (compile time only)
; SGPRBlocks: 6
; VGPRBlocks: 5
; NumSGPRsForWavesPerEU: 52
; NumVGPRsForWavesPerEU: 24
; Occupancy: 10
; WaveLimiterHint : 0
; COMPUTE_PGM_RSRC2:SCRATCH_EN: 0
; COMPUTE_PGM_RSRC2:USER_SGPR: 6
; COMPUTE_PGM_RSRC2:TRAP_HANDLER: 0
; COMPUTE_PGM_RSRC2:TGID_X_EN: 1
; COMPUTE_PGM_RSRC2:TGID_Y_EN: 0
; COMPUTE_PGM_RSRC2:TGID_Z_EN: 0
; COMPUTE_PGM_RSRC2:TIDIG_COMP_CNT: 0
	.section	.text._ZN9rocsparseL25csr2bsr_nnz_65_inf_kernelILj32EilEEvT1_S1_S1_S1_S1_S1_21rocsparse_index_base_PKT0_PKS1_S2_PS3_S8_,"axG",@progbits,_ZN9rocsparseL25csr2bsr_nnz_65_inf_kernelILj32EilEEvT1_S1_S1_S1_S1_S1_21rocsparse_index_base_PKT0_PKS1_S2_PS3_S8_,comdat
	.globl	_ZN9rocsparseL25csr2bsr_nnz_65_inf_kernelILj32EilEEvT1_S1_S1_S1_S1_S1_21rocsparse_index_base_PKT0_PKS1_S2_PS3_S8_ ; -- Begin function _ZN9rocsparseL25csr2bsr_nnz_65_inf_kernelILj32EilEEvT1_S1_S1_S1_S1_S1_21rocsparse_index_base_PKT0_PKS1_S2_PS3_S8_
	.p2align	8
	.type	_ZN9rocsparseL25csr2bsr_nnz_65_inf_kernelILj32EilEEvT1_S1_S1_S1_S1_S1_21rocsparse_index_base_PKT0_PKS1_S2_PS3_S8_,@function
_ZN9rocsparseL25csr2bsr_nnz_65_inf_kernelILj32EilEEvT1_S1_S1_S1_S1_S1_21rocsparse_index_base_PKT0_PKS1_S2_PS3_S8_: ; @_ZN9rocsparseL25csr2bsr_nnz_65_inf_kernelILj32EilEEvT1_S1_S1_S1_S1_S1_21rocsparse_index_base_PKT0_PKS1_S2_PS3_S8_
; %bb.0:
	s_load_dwordx8 s[12:19], s[4:5], 0x10
	s_load_dwordx2 s[0:1], s[4:5], 0x58
	s_load_dword s33, s[4:5], 0x30
	s_mov_b32 s7, 0
	v_mov_b32_e32 v1, 0
	s_waitcnt lgkmcnt(0)
	v_mad_u64_u32 v[2:3], s[2:3], s18, v0, 0
	s_mul_i32 s8, s6, s19
	s_mul_hi_u32 s2, s6, s18
	s_add_i32 s3, s2, s8
	v_mad_u64_u32 v[3:4], s[8:9], s19, v0, v[3:4]
	s_mul_i32 s2, s6, s18
	s_lshl_b64 s[2:3], s[2:3], 8
	s_add_u32 s2, s0, s2
	v_lshlrev_b64 v[4:5], 2, v[2:3]
	s_addc_u32 s3, s1, s3
	s_lshl_b64 s[0:1], s[18:19], 7
	v_mov_b32_e32 v3, s3
	v_add_co_u32_e32 v2, vcc, s2, v4
	s_add_u32 s0, s2, s0
	v_addc_co_u32_e32 v3, vcc, v3, v5, vcc
	s_addc_u32 s1, s3, s1
	v_mov_b32_e32 v6, s1
	v_add_co_u32_e32 v4, vcc, s0, v4
	v_cmp_lt_i64_e64 s[0:1], s[18:19], 1
	v_addc_co_u32_e32 v5, vcc, v6, v5, vcc
	v_cmp_gt_i64_e64 s[2:3], s[18:19], 0
	s_and_b64 vcc, exec, s[0:1]
	s_cbranch_vccnz .LBB31_5
; %bb.1:
	s_mul_i32 s10, s17, s6
	s_mul_hi_u32 s11, s16, s6
	s_add_i32 s20, s11, s10
	s_mul_i32 s21, s16, s6
	s_load_dwordx2 s[0:1], s[4:5], 0x38
	s_load_dwordx2 s[8:9], s[4:5], 0x0
	v_mov_b32_e32 v7, s20
	v_add_co_u32_e32 v6, vcc, s21, v0
	v_addc_co_u32_e32 v7, vcc, 0, v7, vcc
	v_lshlrev_b64 v[6:7], 2, v[6:7]
	s_waitcnt lgkmcnt(0)
	v_mov_b32_e32 v8, s1
	v_add_co_u32_e32 v6, vcc, s0, v6
	v_addc_co_u32_e32 v7, vcc, v8, v7, vcc
	v_add_co_u32_e32 v6, vcc, 4, v6
	v_mov_b32_e32 v9, v5
	v_mov_b32_e32 v11, v1
	v_mov_b32_e32 v13, v3
	v_addc_co_u32_e32 v7, vcc, 0, v7, vcc
	v_mov_b32_e32 v14, 0
	v_mov_b32_e32 v8, v4
	;; [unrolled: 1-line block ×4, first 2 shown]
	s_mov_b64 s[10:11], s[18:19]
	s_branch .LBB31_3
.LBB31_2:                               ;   in Loop: Header=BB31_3 Depth=1
	s_or_b64 exec, exec, s[0:1]
	v_add_co_u32_e32 v12, vcc, 4, v12
	v_addc_co_u32_e32 v13, vcc, 0, v13, vcc
	v_add_co_u32_e32 v6, vcc, 0x80, v6
	v_addc_co_u32_e32 v7, vcc, 0, v7, vcc
	v_add_co_u32_e32 v10, vcc, 32, v10
	s_add_u32 s10, s10, -1
	v_addc_co_u32_e32 v11, vcc, 0, v11, vcc
	s_addc_u32 s11, s11, -1
	v_add_co_u32_e32 v8, vcc, 4, v8
	s_cmp_eq_u64 s[10:11], 0
	v_addc_co_u32_e32 v9, vcc, 0, v9, vcc
	s_cbranch_scc1 .LBB31_5
.LBB31_3:                               ; =>This Inner Loop Header: Depth=1
	v_mov_b32_e32 v16, s20
	v_add_co_u32_e32 v15, vcc, s21, v10
	v_addc_co_u32_e32 v16, vcc, v16, v11, vcc
	v_cmp_gt_i64_e32 vcc, s[8:9], v[15:16]
	v_cmp_gt_i64_e64 s[0:1], s[16:17], v[10:11]
	global_store_dword v[12:13], v14, off
	s_and_b64 s[22:23], vcc, s[0:1]
	global_store_dword v[8:9], v14, off
	s_and_saveexec_b64 s[0:1], s[22:23]
	s_cbranch_execz .LBB31_2
; %bb.4:                                ;   in Loop: Header=BB31_3 Depth=1
	global_load_dwordx2 v[15:16], v[6:7], off offset:-4
	s_waitcnt vmcnt(0)
	v_subrev_u32_e32 v15, s33, v15
	v_subrev_u32_e32 v16, s33, v16
	global_store_dword v[12:13], v15, off
	global_store_dword v[8:9], v16, off
	s_branch .LBB31_2
.LBB31_5:
	s_load_dwordx2 s[10:11], s[4:5], 0x50
	v_cmp_lt_i64_e64 s[0:1], s[14:15], 1
	s_and_b64 vcc, exec, s[0:1]
	v_cmp_eq_u32_e64 s[0:1], 31, v0
	s_cbranch_vccnz .LBB31_24
; %bb.6:
	s_load_dwordx2 s[20:21], s[4:5], 0x40
	v_mbcnt_lo_u32_b32 v1, -1, 0
	v_mbcnt_hi_u32_b32 v1, -1, v1
	v_mov_b32_e32 v7, 0x7c
	v_lshl_or_b32 v20, v1, 2, v7
	v_mov_b32_e32 v8, 0
	v_cndmask_b32_e64 v1, 0, 1, s[2:3]
	v_mov_b32_e32 v6, 0
	s_mov_b64 s[22:23], 0
	v_mov_b32_e32 v9, 0
	v_cmp_ne_u32_e64 s[2:3], 1, v1
	s_ashr_i32 s24, s17, 31
	v_mov_b32_e32 v1, 0
	s_branch .LBB31_8
.LBB31_7:                               ;   in Loop: Header=BB31_8 Depth=1
	v_mov_b32_dpp v7, v10 row_shr:1 row_mask:0xf bank_mask:0xf
	v_mov_b32_dpp v8, v11 row_shr:1 row_mask:0xf bank_mask:0xf
	v_cmp_lt_i64_e32 vcc, v[7:8], v[10:11]
	v_cndmask_b32_e32 v8, v11, v8, vcc
	v_cndmask_b32_e32 v7, v10, v7, vcc
	s_nop 0
	v_mov_b32_dpp v10, v8 row_shr:2 row_mask:0xf bank_mask:0xf
	v_mov_b32_dpp v9, v7 row_shr:2 row_mask:0xf bank_mask:0xf
	v_cmp_lt_i64_e32 vcc, v[9:10], v[7:8]
	v_cndmask_b32_e32 v8, v8, v10, vcc
	v_cndmask_b32_e32 v7, v7, v9, vcc
	s_nop 0
	v_mov_b32_dpp v10, v8 row_shr:4 row_mask:0xf bank_mask:0xe
	v_mov_b32_dpp v9, v7 row_shr:4 row_mask:0xf bank_mask:0xe
	v_cmp_lt_i64_e32 vcc, v[9:10], v[7:8]
	v_cndmask_b32_e32 v8, v8, v10, vcc
	v_cndmask_b32_e32 v7, v7, v9, vcc
	s_nop 0
	v_mov_b32_dpp v10, v8 row_shr:8 row_mask:0xf bank_mask:0xc
	v_mov_b32_dpp v9, v7 row_shr:8 row_mask:0xf bank_mask:0xc
	v_cmp_lt_i64_e32 vcc, v[9:10], v[7:8]
	v_cndmask_b32_e32 v8, v8, v10, vcc
	v_cndmask_b32_e32 v7, v7, v9, vcc
	s_nop 0
	v_mov_b32_dpp v10, v8 row_bcast:15 row_mask:0xa bank_mask:0xf
	v_mov_b32_dpp v9, v7 row_bcast:15 row_mask:0xa bank_mask:0xf
	v_cmp_lt_i64_e32 vcc, v[9:10], v[7:8]
	v_cndmask_b32_e32 v7, v7, v9, vcc
	v_cndmask_b32_e32 v8, v8, v10, vcc
	ds_bpermute_b32 v10, v20, v7
	ds_bpermute_b32 v11, v20, v8
	s_waitcnt lgkmcnt(0)
	v_add_co_u32_e32 v8, vcc, 1, v10
	v_addc_co_u32_e32 v9, vcc, 0, v11, vcc
	v_cmp_gt_i64_e32 vcc, s[14:15], v[10:11]
	v_cmp_le_i64_e64 s[8:9], s[14:15], v[8:9]
	s_and_b64 s[26:27], s[0:1], vcc
	v_cndmask_b32_e64 v7, 0, 1, s[26:27]
	s_or_b64 s[22:23], s[8:9], s[22:23]
	v_add_u32_e32 v1, v1, v7
	s_andn2_b64 exec, exec, s[22:23]
	s_cbranch_execz .LBB31_23
.LBB31_8:                               ; =>This Loop Header: Depth=1
                                        ;     Child Loop BB31_12 Depth 2
                                        ;       Child Loop BB31_15 Depth 3
	v_mov_b32_e32 v10, s14
	s_and_b64 vcc, exec, s[2:3]
	v_mov_b32_e32 v11, s15
	s_cbranch_vccnz .LBB31_7
; %bb.9:                                ;   in Loop: Header=BB31_8 Depth=1
	v_mov_b32_e32 v10, s14
	s_mov_b64 s[26:27], 0
	v_mov_b32_e32 v11, s15
	s_branch .LBB31_12
.LBB31_10:                              ;   in Loop: Header=BB31_12 Depth=2
	s_or_b64 exec, exec, s[8:9]
.LBB31_11:                              ;   in Loop: Header=BB31_12 Depth=2
	s_or_b64 exec, exec, s[28:29]
	s_add_u32 s26, s26, 1
	s_addc_u32 s27, s27, 0
	s_cmp_eq_u64 s[26:27], s[18:19]
	s_cbranch_scc1 .LBB31_7
.LBB31_12:                              ;   Parent Loop BB31_8 Depth=1
                                        ; =>  This Loop Header: Depth=2
                                        ;       Child Loop BB31_15 Depth 3
	s_lshl_b64 s[8:9], s[26:27], 2
	v_mov_b32_e32 v7, s9
	v_add_co_u32_e32 v12, vcc, s8, v2
	v_addc_co_u32_e32 v13, vcc, v3, v7, vcc
	v_add_co_u32_e32 v14, vcc, s8, v4
	v_addc_co_u32_e32 v15, vcc, v5, v7, vcc
	global_load_dword v18, v[12:13], off
	global_load_dword v21, v[14:15], off
	s_waitcnt vmcnt(0)
	v_cmp_lt_i32_e32 vcc, v18, v21
	s_and_saveexec_b64 s[28:29], vcc
	s_cbranch_execz .LBB31_11
; %bb.13:                               ;   in Loop: Header=BB31_12 Depth=2
	v_ashrrev_i32_e32 v19, 31, v18
	v_lshlrev_b64 v[14:15], 3, v[18:19]
	s_waitcnt lgkmcnt(0)
	v_mov_b32_e32 v7, s21
	v_add_co_u32_e32 v14, vcc, s20, v14
	v_addc_co_u32_e32 v15, vcc, v7, v15, vcc
	s_mov_b64 s[30:31], 0
                                        ; implicit-def: $sgpr34_sgpr35
                                        ; implicit-def: $sgpr36_sgpr37
	s_branch .LBB31_15
.LBB31_14:                              ;   in Loop: Header=BB31_15 Depth=3
	s_or_b64 exec, exec, s[38:39]
	s_and_b64 s[8:9], exec, s[8:9]
	s_or_b64 s[30:31], s[8:9], s[30:31]
	s_andn2_b64 s[8:9], s[34:35], exec
	s_and_b64 s[34:35], s[36:37], exec
	s_or_b64 s[34:35], s[8:9], s[34:35]
	s_andn2_b64 exec, exec, s[30:31]
	s_cbranch_execz .LBB31_21
.LBB31_15:                              ;   Parent Loop BB31_8 Depth=1
                                        ;     Parent Loop BB31_12 Depth=2
                                        ; =>    This Inner Loop Header: Depth=3
	global_load_dwordx2 v[16:17], v[14:15], off
	s_waitcnt vmcnt(0)
	v_subrev_co_u32_e32 v19, vcc, s33, v16
	v_subbrev_co_u32_e32 v22, vcc, 0, v17, vcc
	v_or_b32_e32 v7, s17, v22
	v_cmp_ne_u64_e32 vcc, 0, v[6:7]
	v_mov_b32_e32 v7, v18
                                        ; implicit-def: $vgpr16_vgpr17
	s_and_saveexec_b64 s[8:9], vcc
	s_xor_b64 s[38:39], exec, s[8:9]
	s_cbranch_execz .LBB31_17
; %bb.16:                               ;   in Loop: Header=BB31_15 Depth=3
	s_add_u32 s8, s16, s24
	s_mov_b32 s25, s24
	s_addc_u32 s9, s17, s24
	s_xor_b64 s[40:41], s[8:9], s[24:25]
	v_cvt_f32_u32_e32 v16, s40
	v_cvt_f32_u32_e32 v17, s41
	s_sub_u32 s25, 0, s40
	s_subb_u32 s42, 0, s41
	v_ashrrev_i32_e32 v23, 31, v22
	v_mac_f32_e32 v16, 0x4f800000, v17
	v_rcp_f32_e32 v16, v16
	v_mul_f32_e32 v16, 0x5f7ffffc, v16
	v_mul_f32_e32 v17, 0x2f800000, v16
	v_trunc_f32_e32 v17, v17
	v_mac_f32_e32 v16, 0xcf800000, v17
	v_cvt_u32_f32_e32 v17, v17
	v_cvt_u32_f32_e32 v16, v16
	v_readfirstlane_b32 s43, v17
	v_readfirstlane_b32 s8, v16
	s_mul_i32 s9, s25, s43
	s_mul_hi_u32 s45, s25, s8
	s_mul_i32 s44, s42, s8
	s_add_i32 s9, s45, s9
	s_add_i32 s9, s9, s44
	s_mul_i32 s46, s25, s8
	s_mul_i32 s45, s8, s9
	s_mul_hi_u32 s47, s8, s46
	s_mul_hi_u32 s44, s8, s9
	s_add_u32 s45, s47, s45
	s_addc_u32 s44, 0, s44
	s_mul_hi_u32 s48, s43, s46
	s_mul_i32 s46, s43, s46
	s_add_u32 s45, s45, s46
	s_mul_hi_u32 s47, s43, s9
	s_addc_u32 s44, s44, s48
	s_addc_u32 s45, s47, 0
	s_mul_i32 s9, s43, s9
	s_add_u32 s9, s44, s9
	s_addc_u32 s44, 0, s45
	s_add_u32 s45, s8, s9
	s_cselect_b64 s[8:9], -1, 0
	s_cmp_lg_u64 s[8:9], 0
	s_addc_u32 s43, s43, s44
	s_mul_i32 s8, s25, s43
	s_mul_hi_u32 s9, s25, s45
	s_add_i32 s8, s9, s8
	s_mul_i32 s42, s42, s45
	s_add_i32 s8, s8, s42
	s_mul_i32 s25, s25, s45
	s_mul_hi_u32 s42, s43, s25
	s_mul_i32 s44, s43, s25
	s_mul_i32 s47, s45, s8
	s_mul_hi_u32 s25, s45, s25
	s_mul_hi_u32 s46, s45, s8
	s_add_u32 s25, s25, s47
	s_addc_u32 s46, 0, s46
	s_add_u32 s25, s25, s44
	s_mul_hi_u32 s9, s43, s8
	s_addc_u32 s25, s46, s42
	s_addc_u32 s9, s9, 0
	s_mul_i32 s8, s43, s8
	s_add_u32 s8, s25, s8
	s_addc_u32 s25, 0, s9
	s_add_u32 s42, s45, s8
	s_cselect_b64 s[8:9], -1, 0
	s_cmp_lg_u64 s[8:9], 0
	v_add_co_u32_e32 v16, vcc, v19, v23
	s_addc_u32 s25, s43, s25
	v_addc_co_u32_e32 v18, vcc, v22, v23, vcc
	v_xor_b32_e32 v22, v16, v23
	v_mad_u64_u32 v[16:17], s[8:9], v22, s25, 0
	v_mul_hi_u32 v19, v22, s42
	v_xor_b32_e32 v24, v18, v23
	v_add_co_u32_e32 v25, vcc, v19, v16
	v_addc_co_u32_e32 v26, vcc, 0, v17, vcc
	v_mad_u64_u32 v[16:17], s[8:9], v24, s42, 0
	v_mad_u64_u32 v[18:19], s[8:9], v24, s25, 0
	v_add_co_u32_e32 v16, vcc, v25, v16
	v_addc_co_u32_e32 v16, vcc, v26, v17, vcc
	v_addc_co_u32_e32 v17, vcc, 0, v19, vcc
	v_add_co_u32_e32 v18, vcc, v16, v18
	v_addc_co_u32_e32 v19, vcc, 0, v17, vcc
	v_mul_lo_u32 v25, s41, v18
	v_mul_lo_u32 v26, s40, v19
	v_mad_u64_u32 v[16:17], s[8:9], s40, v18, 0
	v_add3_u32 v17, v17, v26, v25
	v_sub_u32_e32 v25, v24, v17
	v_mov_b32_e32 v26, s41
	v_sub_co_u32_e32 v16, vcc, v22, v16
	v_subb_co_u32_e64 v22, s[8:9], v25, v26, vcc
	v_subrev_co_u32_e64 v25, s[8:9], s40, v16
	v_subbrev_co_u32_e64 v22, s[8:9], 0, v22, s[8:9]
	v_cmp_le_u32_e64 s[8:9], s41, v22
	v_cndmask_b32_e64 v26, 0, -1, s[8:9]
	v_cmp_le_u32_e64 s[8:9], s40, v25
	v_cndmask_b32_e64 v25, 0, -1, s[8:9]
	v_cmp_eq_u32_e64 s[8:9], s41, v22
	v_cndmask_b32_e64 v22, v26, v25, s[8:9]
	v_add_co_u32_e64 v25, s[8:9], 2, v18
	v_subb_co_u32_e32 v17, vcc, v24, v17, vcc
	v_addc_co_u32_e64 v26, s[8:9], 0, v19, s[8:9]
	v_cmp_le_u32_e32 vcc, s41, v17
	v_add_co_u32_e64 v27, s[8:9], 1, v18
	v_cndmask_b32_e64 v24, 0, -1, vcc
	v_cmp_le_u32_e32 vcc, s40, v16
	v_addc_co_u32_e64 v28, s[8:9], 0, v19, s[8:9]
	v_cndmask_b32_e64 v16, 0, -1, vcc
	v_cmp_eq_u32_e32 vcc, s41, v17
	v_cmp_ne_u32_e64 s[8:9], 0, v22
	v_cndmask_b32_e32 v16, v24, v16, vcc
	v_cndmask_b32_e64 v22, v28, v26, s[8:9]
	v_cmp_ne_u32_e32 vcc, 0, v16
	v_cndmask_b32_e64 v17, v27, v25, s[8:9]
	v_cndmask_b32_e32 v16, v19, v22, vcc
	v_cndmask_b32_e32 v17, v18, v17, vcc
	v_xor_b32_e32 v18, s24, v23
	v_xor_b32_e32 v19, v16, v18
	;; [unrolled: 1-line block ×3, first 2 shown]
	v_sub_co_u32_e32 v16, vcc, v16, v18
	v_subb_co_u32_e32 v17, vcc, v19, v18, vcc
                                        ; implicit-def: $vgpr19
.LBB31_17:                              ;   in Loop: Header=BB31_15 Depth=3
	s_andn2_saveexec_b64 s[8:9], s[38:39]
	s_cbranch_execz .LBB31_19
; %bb.18:                               ;   in Loop: Header=BB31_15 Depth=3
	v_cvt_f32_u32_e32 v16, s16
	s_sub_i32 s25, 0, s16
	v_rcp_iflag_f32_e32 v16, v16
	v_mul_f32_e32 v16, 0x4f7ffffe, v16
	v_cvt_u32_f32_e32 v16, v16
	v_mul_lo_u32 v17, s25, v16
	v_mul_hi_u32 v17, v16, v17
	v_add_u32_e32 v16, v16, v17
	v_mul_hi_u32 v16, v19, v16
	v_mul_lo_u32 v17, v16, s16
	v_add_u32_e32 v18, 1, v16
	v_sub_u32_e32 v17, v19, v17
	v_subrev_u32_e32 v19, s16, v17
	v_cmp_le_u32_e32 vcc, s16, v17
	v_cndmask_b32_e32 v17, v17, v19, vcc
	v_cndmask_b32_e32 v16, v16, v18, vcc
	v_add_u32_e32 v18, 1, v16
	v_cmp_le_u32_e32 vcc, s16, v17
	v_cndmask_b32_e32 v16, v16, v18, vcc
	v_mov_b32_e32 v17, v6
.LBB31_19:                              ;   in Loop: Header=BB31_15 Depth=3
	s_or_b64 exec, exec, s[8:9]
	v_cmp_lt_i64_e32 vcc, v[16:17], v[8:9]
	s_mov_b64 s[8:9], -1
	s_or_b64 s[36:37], s[36:37], exec
                                        ; implicit-def: $vgpr18
	s_and_saveexec_b64 s[38:39], vcc
	s_cbranch_execz .LBB31_14
; %bb.20:                               ;   in Loop: Header=BB31_15 Depth=3
	v_add_co_u32_e32 v14, vcc, 8, v14
	v_add_u32_e32 v18, 1, v7
	v_addc_co_u32_e32 v15, vcc, 0, v15, vcc
	v_cmp_ge_i32_e32 vcc, v18, v21
	s_andn2_b64 s[36:37], s[36:37], exec
	s_orn2_b64 s[8:9], vcc, exec
	s_branch .LBB31_14
.LBB31_21:                              ;   in Loop: Header=BB31_12 Depth=2
	s_or_b64 exec, exec, s[30:31]
	s_and_saveexec_b64 s[8:9], s[34:35]
	s_xor_b64 s[8:9], exec, s[8:9]
	s_cbranch_execz .LBB31_10
; %bb.22:                               ;   in Loop: Header=BB31_12 Depth=2
	v_cmp_lt_i64_e32 vcc, v[16:17], v[10:11]
	global_store_dword v[12:13], v7, off
	v_cndmask_b32_e32 v11, v11, v17, vcc
	v_cndmask_b32_e32 v10, v10, v16, vcc
	s_branch .LBB31_10
.LBB31_23:
	s_or_b64 exec, exec, s[22:23]
.LBB31_24:
	v_mov_b32_e32 v2, s6
	v_mov_b32_e32 v3, s7
	v_cmp_gt_i64_e32 vcc, s[12:13], v[2:3]
	v_cmp_eq_u32_e64 s[0:1], 31, v0
	s_and_b64 s[0:1], s[0:1], vcc
	s_and_saveexec_b64 s[2:3], s[0:1]
	s_cbranch_execz .LBB31_26
; %bb.25:
	s_load_dword s2, s[4:5], 0x48
	s_lshl_b64 s[0:1], s[6:7], 2
	v_mov_b32_e32 v0, 0
	s_waitcnt lgkmcnt(0)
	s_add_u32 s0, s10, s0
	s_addc_u32 s1, s11, s1
	v_mov_b32_e32 v2, s2
	global_store_dword v0, v2, s[10:11]
	global_store_dword v0, v1, s[0:1] offset:4
.LBB31_26:
	s_endpgm
	.section	.rodata,"a",@progbits
	.p2align	6, 0x0
	.amdhsa_kernel _ZN9rocsparseL25csr2bsr_nnz_65_inf_kernelILj32EilEEvT1_S1_S1_S1_S1_S1_21rocsparse_index_base_PKT0_PKS1_S2_PS3_S8_
		.amdhsa_group_segment_fixed_size 0
		.amdhsa_private_segment_fixed_size 0
		.amdhsa_kernarg_size 96
		.amdhsa_user_sgpr_count 6
		.amdhsa_user_sgpr_private_segment_buffer 1
		.amdhsa_user_sgpr_dispatch_ptr 0
		.amdhsa_user_sgpr_queue_ptr 0
		.amdhsa_user_sgpr_kernarg_segment_ptr 1
		.amdhsa_user_sgpr_dispatch_id 0
		.amdhsa_user_sgpr_flat_scratch_init 0
		.amdhsa_user_sgpr_private_segment_size 0
		.amdhsa_uses_dynamic_stack 0
		.amdhsa_system_sgpr_private_segment_wavefront_offset 0
		.amdhsa_system_sgpr_workgroup_id_x 1
		.amdhsa_system_sgpr_workgroup_id_y 0
		.amdhsa_system_sgpr_workgroup_id_z 0
		.amdhsa_system_sgpr_workgroup_info 0
		.amdhsa_system_vgpr_workitem_id 0
		.amdhsa_next_free_vgpr 29
		.amdhsa_next_free_sgpr 49
		.amdhsa_reserve_vcc 1
		.amdhsa_reserve_flat_scratch 0
		.amdhsa_float_round_mode_32 0
		.amdhsa_float_round_mode_16_64 0
		.amdhsa_float_denorm_mode_32 3
		.amdhsa_float_denorm_mode_16_64 3
		.amdhsa_dx10_clamp 1
		.amdhsa_ieee_mode 1
		.amdhsa_fp16_overflow 0
		.amdhsa_exception_fp_ieee_invalid_op 0
		.amdhsa_exception_fp_denorm_src 0
		.amdhsa_exception_fp_ieee_div_zero 0
		.amdhsa_exception_fp_ieee_overflow 0
		.amdhsa_exception_fp_ieee_underflow 0
		.amdhsa_exception_fp_ieee_inexact 0
		.amdhsa_exception_int_div_zero 0
	.end_amdhsa_kernel
	.section	.text._ZN9rocsparseL25csr2bsr_nnz_65_inf_kernelILj32EilEEvT1_S1_S1_S1_S1_S1_21rocsparse_index_base_PKT0_PKS1_S2_PS3_S8_,"axG",@progbits,_ZN9rocsparseL25csr2bsr_nnz_65_inf_kernelILj32EilEEvT1_S1_S1_S1_S1_S1_21rocsparse_index_base_PKT0_PKS1_S2_PS3_S8_,comdat
.Lfunc_end31:
	.size	_ZN9rocsparseL25csr2bsr_nnz_65_inf_kernelILj32EilEEvT1_S1_S1_S1_S1_S1_21rocsparse_index_base_PKT0_PKS1_S2_PS3_S8_, .Lfunc_end31-_ZN9rocsparseL25csr2bsr_nnz_65_inf_kernelILj32EilEEvT1_S1_S1_S1_S1_S1_21rocsparse_index_base_PKT0_PKS1_S2_PS3_S8_
                                        ; -- End function
	.set _ZN9rocsparseL25csr2bsr_nnz_65_inf_kernelILj32EilEEvT1_S1_S1_S1_S1_S1_21rocsparse_index_base_PKT0_PKS1_S2_PS3_S8_.num_vgpr, 29
	.set _ZN9rocsparseL25csr2bsr_nnz_65_inf_kernelILj32EilEEvT1_S1_S1_S1_S1_S1_21rocsparse_index_base_PKT0_PKS1_S2_PS3_S8_.num_agpr, 0
	.set _ZN9rocsparseL25csr2bsr_nnz_65_inf_kernelILj32EilEEvT1_S1_S1_S1_S1_S1_21rocsparse_index_base_PKT0_PKS1_S2_PS3_S8_.numbered_sgpr, 49
	.set _ZN9rocsparseL25csr2bsr_nnz_65_inf_kernelILj32EilEEvT1_S1_S1_S1_S1_S1_21rocsparse_index_base_PKT0_PKS1_S2_PS3_S8_.num_named_barrier, 0
	.set _ZN9rocsparseL25csr2bsr_nnz_65_inf_kernelILj32EilEEvT1_S1_S1_S1_S1_S1_21rocsparse_index_base_PKT0_PKS1_S2_PS3_S8_.private_seg_size, 0
	.set _ZN9rocsparseL25csr2bsr_nnz_65_inf_kernelILj32EilEEvT1_S1_S1_S1_S1_S1_21rocsparse_index_base_PKT0_PKS1_S2_PS3_S8_.uses_vcc, 1
	.set _ZN9rocsparseL25csr2bsr_nnz_65_inf_kernelILj32EilEEvT1_S1_S1_S1_S1_S1_21rocsparse_index_base_PKT0_PKS1_S2_PS3_S8_.uses_flat_scratch, 0
	.set _ZN9rocsparseL25csr2bsr_nnz_65_inf_kernelILj32EilEEvT1_S1_S1_S1_S1_S1_21rocsparse_index_base_PKT0_PKS1_S2_PS3_S8_.has_dyn_sized_stack, 0
	.set _ZN9rocsparseL25csr2bsr_nnz_65_inf_kernelILj32EilEEvT1_S1_S1_S1_S1_S1_21rocsparse_index_base_PKT0_PKS1_S2_PS3_S8_.has_recursion, 0
	.set _ZN9rocsparseL25csr2bsr_nnz_65_inf_kernelILj32EilEEvT1_S1_S1_S1_S1_S1_21rocsparse_index_base_PKT0_PKS1_S2_PS3_S8_.has_indirect_call, 0
	.section	.AMDGPU.csdata,"",@progbits
; Kernel info:
; codeLenInByte = 1860
; TotalNumSgprs: 53
; NumVgprs: 29
; ScratchSize: 0
; MemoryBound: 0
; FloatMode: 240
; IeeeMode: 1
; LDSByteSize: 0 bytes/workgroup (compile time only)
; SGPRBlocks: 6
; VGPRBlocks: 7
; NumSGPRsForWavesPerEU: 53
; NumVGPRsForWavesPerEU: 29
; Occupancy: 8
; WaveLimiterHint : 0
; COMPUTE_PGM_RSRC2:SCRATCH_EN: 0
; COMPUTE_PGM_RSRC2:USER_SGPR: 6
; COMPUTE_PGM_RSRC2:TRAP_HANDLER: 0
; COMPUTE_PGM_RSRC2:TGID_X_EN: 1
; COMPUTE_PGM_RSRC2:TGID_Y_EN: 0
; COMPUTE_PGM_RSRC2:TGID_Z_EN: 0
; COMPUTE_PGM_RSRC2:TIDIG_COMP_CNT: 0
	.section	.text._ZN9rocsparseL36csr2bsr_nnz_compute_nnz_total_kernelILj1EilEEvT1_PKT0_PS2_,"axG",@progbits,_ZN9rocsparseL36csr2bsr_nnz_compute_nnz_total_kernelILj1EilEEvT1_PKT0_PS2_,comdat
	.globl	_ZN9rocsparseL36csr2bsr_nnz_compute_nnz_total_kernelILj1EilEEvT1_PKT0_PS2_ ; -- Begin function _ZN9rocsparseL36csr2bsr_nnz_compute_nnz_total_kernelILj1EilEEvT1_PKT0_PS2_
	.p2align	8
	.type	_ZN9rocsparseL36csr2bsr_nnz_compute_nnz_total_kernelILj1EilEEvT1_PKT0_PS2_,@function
_ZN9rocsparseL36csr2bsr_nnz_compute_nnz_total_kernelILj1EilEEvT1_PKT0_PS2_: ; @_ZN9rocsparseL36csr2bsr_nnz_compute_nnz_total_kernelILj1EilEEvT1_PKT0_PS2_
; %bb.0:
	s_sub_i32 s0, 0, s6
	s_cmp_lg_u32 s0, 0
	s_cbranch_scc1 .LBB32_2
; %bb.1:
	s_load_dwordx4 s[0:3], s[4:5], 0x0
	s_load_dwordx2 s[6:7], s[4:5], 0x10
	v_mov_b32_e32 v0, 0
	s_waitcnt lgkmcnt(0)
	s_lshl_b64 s[0:1], s[0:1], 2
	s_add_u32 s0, s2, s0
	s_addc_u32 s1, s3, s1
	s_load_dword s4, s[0:1], 0x0
	s_load_dword s5, s[2:3], 0x0
	s_waitcnt lgkmcnt(0)
	s_sub_i32 s0, s4, s5
	v_mov_b32_e32 v1, s0
	global_store_dword v0, v1, s[6:7]
.LBB32_2:
	s_endpgm
	.section	.rodata,"a",@progbits
	.p2align	6, 0x0
	.amdhsa_kernel _ZN9rocsparseL36csr2bsr_nnz_compute_nnz_total_kernelILj1EilEEvT1_PKT0_PS2_
		.amdhsa_group_segment_fixed_size 0
		.amdhsa_private_segment_fixed_size 0
		.amdhsa_kernarg_size 24
		.amdhsa_user_sgpr_count 6
		.amdhsa_user_sgpr_private_segment_buffer 1
		.amdhsa_user_sgpr_dispatch_ptr 0
		.amdhsa_user_sgpr_queue_ptr 0
		.amdhsa_user_sgpr_kernarg_segment_ptr 1
		.amdhsa_user_sgpr_dispatch_id 0
		.amdhsa_user_sgpr_flat_scratch_init 0
		.amdhsa_user_sgpr_private_segment_size 0
		.amdhsa_uses_dynamic_stack 0
		.amdhsa_system_sgpr_private_segment_wavefront_offset 0
		.amdhsa_system_sgpr_workgroup_id_x 1
		.amdhsa_system_sgpr_workgroup_id_y 0
		.amdhsa_system_sgpr_workgroup_id_z 0
		.amdhsa_system_sgpr_workgroup_info 0
		.amdhsa_system_vgpr_workitem_id 0
		.amdhsa_next_free_vgpr 2
		.amdhsa_next_free_sgpr 8
		.amdhsa_reserve_vcc 0
		.amdhsa_reserve_flat_scratch 0
		.amdhsa_float_round_mode_32 0
		.amdhsa_float_round_mode_16_64 0
		.amdhsa_float_denorm_mode_32 3
		.amdhsa_float_denorm_mode_16_64 3
		.amdhsa_dx10_clamp 1
		.amdhsa_ieee_mode 1
		.amdhsa_fp16_overflow 0
		.amdhsa_exception_fp_ieee_invalid_op 0
		.amdhsa_exception_fp_denorm_src 0
		.amdhsa_exception_fp_ieee_div_zero 0
		.amdhsa_exception_fp_ieee_overflow 0
		.amdhsa_exception_fp_ieee_underflow 0
		.amdhsa_exception_fp_ieee_inexact 0
		.amdhsa_exception_int_div_zero 0
	.end_amdhsa_kernel
	.section	.text._ZN9rocsparseL36csr2bsr_nnz_compute_nnz_total_kernelILj1EilEEvT1_PKT0_PS2_,"axG",@progbits,_ZN9rocsparseL36csr2bsr_nnz_compute_nnz_total_kernelILj1EilEEvT1_PKT0_PS2_,comdat
.Lfunc_end32:
	.size	_ZN9rocsparseL36csr2bsr_nnz_compute_nnz_total_kernelILj1EilEEvT1_PKT0_PS2_, .Lfunc_end32-_ZN9rocsparseL36csr2bsr_nnz_compute_nnz_total_kernelILj1EilEEvT1_PKT0_PS2_
                                        ; -- End function
	.set _ZN9rocsparseL36csr2bsr_nnz_compute_nnz_total_kernelILj1EilEEvT1_PKT0_PS2_.num_vgpr, 2
	.set _ZN9rocsparseL36csr2bsr_nnz_compute_nnz_total_kernelILj1EilEEvT1_PKT0_PS2_.num_agpr, 0
	.set _ZN9rocsparseL36csr2bsr_nnz_compute_nnz_total_kernelILj1EilEEvT1_PKT0_PS2_.numbered_sgpr, 8
	.set _ZN9rocsparseL36csr2bsr_nnz_compute_nnz_total_kernelILj1EilEEvT1_PKT0_PS2_.num_named_barrier, 0
	.set _ZN9rocsparseL36csr2bsr_nnz_compute_nnz_total_kernelILj1EilEEvT1_PKT0_PS2_.private_seg_size, 0
	.set _ZN9rocsparseL36csr2bsr_nnz_compute_nnz_total_kernelILj1EilEEvT1_PKT0_PS2_.uses_vcc, 0
	.set _ZN9rocsparseL36csr2bsr_nnz_compute_nnz_total_kernelILj1EilEEvT1_PKT0_PS2_.uses_flat_scratch, 0
	.set _ZN9rocsparseL36csr2bsr_nnz_compute_nnz_total_kernelILj1EilEEvT1_PKT0_PS2_.has_dyn_sized_stack, 0
	.set _ZN9rocsparseL36csr2bsr_nnz_compute_nnz_total_kernelILj1EilEEvT1_PKT0_PS2_.has_recursion, 0
	.set _ZN9rocsparseL36csr2bsr_nnz_compute_nnz_total_kernelILj1EilEEvT1_PKT0_PS2_.has_indirect_call, 0
	.section	.AMDGPU.csdata,"",@progbits
; Kernel info:
; codeLenInByte = 88
; TotalNumSgprs: 12
; NumVgprs: 2
; ScratchSize: 0
; MemoryBound: 0
; FloatMode: 240
; IeeeMode: 1
; LDSByteSize: 0 bytes/workgroup (compile time only)
; SGPRBlocks: 1
; VGPRBlocks: 0
; NumSGPRsForWavesPerEU: 12
; NumVGPRsForWavesPerEU: 2
; Occupancy: 10
; WaveLimiterHint : 0
; COMPUTE_PGM_RSRC2:SCRATCH_EN: 0
; COMPUTE_PGM_RSRC2:USER_SGPR: 6
; COMPUTE_PGM_RSRC2:TRAP_HANDLER: 0
; COMPUTE_PGM_RSRC2:TGID_X_EN: 1
; COMPUTE_PGM_RSRC2:TGID_Y_EN: 0
; COMPUTE_PGM_RSRC2:TGID_Z_EN: 0
; COMPUTE_PGM_RSRC2:TIDIG_COMP_CNT: 0
	.section	.text._ZN9rocsparseL39csr2bsr_nnz_block_dim_equals_one_kernelILj256EllEEvT1_21rocsparse_index_base_PKT0_S2_PS3_S6_,"axG",@progbits,_ZN9rocsparseL39csr2bsr_nnz_block_dim_equals_one_kernelILj256EllEEvT1_21rocsparse_index_base_PKT0_S2_PS3_S6_,comdat
	.globl	_ZN9rocsparseL39csr2bsr_nnz_block_dim_equals_one_kernelILj256EllEEvT1_21rocsparse_index_base_PKT0_S2_PS3_S6_ ; -- Begin function _ZN9rocsparseL39csr2bsr_nnz_block_dim_equals_one_kernelILj256EllEEvT1_21rocsparse_index_base_PKT0_S2_PS3_S6_
	.p2align	8
	.type	_ZN9rocsparseL39csr2bsr_nnz_block_dim_equals_one_kernelILj256EllEEvT1_21rocsparse_index_base_PKT0_S2_PS3_S6_,@function
_ZN9rocsparseL39csr2bsr_nnz_block_dim_equals_one_kernelILj256EllEEvT1_21rocsparse_index_base_PKT0_S2_PS3_S6_: ; @_ZN9rocsparseL39csr2bsr_nnz_block_dim_equals_one_kernelILj256EllEEvT1_21rocsparse_index_base_PKT0_S2_PS3_S6_
; %bb.0:
	s_load_dword s7, s[4:5], 0x3c
	s_load_dwordx2 s[2:3], s[4:5], 0x0
	s_load_dwordx2 s[0:1], s[4:5], 0x10
	v_mov_b32_e32 v1, 0
	s_waitcnt lgkmcnt(0)
	s_and_b32 s7, s7, 0xffff
	s_mul_i32 s6, s6, s7
	v_add_u32_e32 v0, s6, v0
	v_cmp_ge_i64_e32 vcc, s[2:3], v[0:1]
	s_and_saveexec_b64 s[6:7], vcc
	s_cbranch_execnz .LBB33_3
; %bb.1:
	s_or_b64 exec, exec, s[6:7]
	v_cmp_eq_u32_e32 vcc, 0, v0
	s_and_saveexec_b64 s[6:7], vcc
	s_cbranch_execnz .LBB33_4
.LBB33_2:
	s_endpgm
.LBB33_3:
	v_lshlrev_b64 v[1:2], 3, v[0:1]
	v_mov_b32_e32 v4, s1
	v_add_co_u32_e32 v3, vcc, s0, v1
	v_addc_co_u32_e32 v4, vcc, v4, v2, vcc
	global_load_dwordx2 v[3:4], v[3:4], off
	s_load_dwordx2 s[8:9], s[4:5], 0x20
	s_load_dword s10, s[4:5], 0x8
	s_load_dword s11, s[4:5], 0x18
	s_waitcnt lgkmcnt(0)
	v_mov_b32_e32 v5, s9
	v_add_co_u32_e32 v1, vcc, s8, v1
	s_sub_u32 s9, s11, s10
	v_addc_co_u32_e32 v2, vcc, v5, v2, vcc
	s_subb_u32 s8, 0, 0
	v_mov_b32_e32 v5, s8
	s_waitcnt vmcnt(0)
	v_add_co_u32_e32 v3, vcc, s9, v3
	v_addc_co_u32_e32 v4, vcc, v5, v4, vcc
	global_store_dwordx2 v[1:2], v[3:4], off
	s_or_b64 exec, exec, s[6:7]
	v_cmp_eq_u32_e32 vcc, 0, v0
	s_and_saveexec_b64 s[6:7], vcc
	s_cbranch_execz .LBB33_2
.LBB33_4:
	s_lshl_b64 s[2:3], s[2:3], 3
	s_add_u32 s2, s0, s2
	s_addc_u32 s3, s1, s3
	s_load_dwordx2 s[6:7], s[2:3], 0x0
	s_load_dwordx2 s[8:9], s[0:1], 0x0
	;; [unrolled: 1-line block ×3, first 2 shown]
	v_mov_b32_e32 v2, 0
	s_waitcnt lgkmcnt(0)
	s_sub_u32 s0, s6, s8
	s_subb_u32 s1, s7, s9
	v_mov_b32_e32 v0, s0
	v_mov_b32_e32 v1, s1
	global_store_dwordx2 v2, v[0:1], s[10:11]
	s_endpgm
	.section	.rodata,"a",@progbits
	.p2align	6, 0x0
	.amdhsa_kernel _ZN9rocsparseL39csr2bsr_nnz_block_dim_equals_one_kernelILj256EllEEvT1_21rocsparse_index_base_PKT0_S2_PS3_S6_
		.amdhsa_group_segment_fixed_size 0
		.amdhsa_private_segment_fixed_size 0
		.amdhsa_kernarg_size 304
		.amdhsa_user_sgpr_count 6
		.amdhsa_user_sgpr_private_segment_buffer 1
		.amdhsa_user_sgpr_dispatch_ptr 0
		.amdhsa_user_sgpr_queue_ptr 0
		.amdhsa_user_sgpr_kernarg_segment_ptr 1
		.amdhsa_user_sgpr_dispatch_id 0
		.amdhsa_user_sgpr_flat_scratch_init 0
		.amdhsa_user_sgpr_private_segment_size 0
		.amdhsa_uses_dynamic_stack 0
		.amdhsa_system_sgpr_private_segment_wavefront_offset 0
		.amdhsa_system_sgpr_workgroup_id_x 1
		.amdhsa_system_sgpr_workgroup_id_y 0
		.amdhsa_system_sgpr_workgroup_id_z 0
		.amdhsa_system_sgpr_workgroup_info 0
		.amdhsa_system_vgpr_workitem_id 0
		.amdhsa_next_free_vgpr 6
		.amdhsa_next_free_sgpr 12
		.amdhsa_reserve_vcc 1
		.amdhsa_reserve_flat_scratch 0
		.amdhsa_float_round_mode_32 0
		.amdhsa_float_round_mode_16_64 0
		.amdhsa_float_denorm_mode_32 3
		.amdhsa_float_denorm_mode_16_64 3
		.amdhsa_dx10_clamp 1
		.amdhsa_ieee_mode 1
		.amdhsa_fp16_overflow 0
		.amdhsa_exception_fp_ieee_invalid_op 0
		.amdhsa_exception_fp_denorm_src 0
		.amdhsa_exception_fp_ieee_div_zero 0
		.amdhsa_exception_fp_ieee_overflow 0
		.amdhsa_exception_fp_ieee_underflow 0
		.amdhsa_exception_fp_ieee_inexact 0
		.amdhsa_exception_int_div_zero 0
	.end_amdhsa_kernel
	.section	.text._ZN9rocsparseL39csr2bsr_nnz_block_dim_equals_one_kernelILj256EllEEvT1_21rocsparse_index_base_PKT0_S2_PS3_S6_,"axG",@progbits,_ZN9rocsparseL39csr2bsr_nnz_block_dim_equals_one_kernelILj256EllEEvT1_21rocsparse_index_base_PKT0_S2_PS3_S6_,comdat
.Lfunc_end33:
	.size	_ZN9rocsparseL39csr2bsr_nnz_block_dim_equals_one_kernelILj256EllEEvT1_21rocsparse_index_base_PKT0_S2_PS3_S6_, .Lfunc_end33-_ZN9rocsparseL39csr2bsr_nnz_block_dim_equals_one_kernelILj256EllEEvT1_21rocsparse_index_base_PKT0_S2_PS3_S6_
                                        ; -- End function
	.set _ZN9rocsparseL39csr2bsr_nnz_block_dim_equals_one_kernelILj256EllEEvT1_21rocsparse_index_base_PKT0_S2_PS3_S6_.num_vgpr, 6
	.set _ZN9rocsparseL39csr2bsr_nnz_block_dim_equals_one_kernelILj256EllEEvT1_21rocsparse_index_base_PKT0_S2_PS3_S6_.num_agpr, 0
	.set _ZN9rocsparseL39csr2bsr_nnz_block_dim_equals_one_kernelILj256EllEEvT1_21rocsparse_index_base_PKT0_S2_PS3_S6_.numbered_sgpr, 12
	.set _ZN9rocsparseL39csr2bsr_nnz_block_dim_equals_one_kernelILj256EllEEvT1_21rocsparse_index_base_PKT0_S2_PS3_S6_.num_named_barrier, 0
	.set _ZN9rocsparseL39csr2bsr_nnz_block_dim_equals_one_kernelILj256EllEEvT1_21rocsparse_index_base_PKT0_S2_PS3_S6_.private_seg_size, 0
	.set _ZN9rocsparseL39csr2bsr_nnz_block_dim_equals_one_kernelILj256EllEEvT1_21rocsparse_index_base_PKT0_S2_PS3_S6_.uses_vcc, 1
	.set _ZN9rocsparseL39csr2bsr_nnz_block_dim_equals_one_kernelILj256EllEEvT1_21rocsparse_index_base_PKT0_S2_PS3_S6_.uses_flat_scratch, 0
	.set _ZN9rocsparseL39csr2bsr_nnz_block_dim_equals_one_kernelILj256EllEEvT1_21rocsparse_index_base_PKT0_S2_PS3_S6_.has_dyn_sized_stack, 0
	.set _ZN9rocsparseL39csr2bsr_nnz_block_dim_equals_one_kernelILj256EllEEvT1_21rocsparse_index_base_PKT0_S2_PS3_S6_.has_recursion, 0
	.set _ZN9rocsparseL39csr2bsr_nnz_block_dim_equals_one_kernelILj256EllEEvT1_21rocsparse_index_base_PKT0_S2_PS3_S6_.has_indirect_call, 0
	.section	.AMDGPU.csdata,"",@progbits
; Kernel info:
; codeLenInByte = 268
; TotalNumSgprs: 16
; NumVgprs: 6
; ScratchSize: 0
; MemoryBound: 1
; FloatMode: 240
; IeeeMode: 1
; LDSByteSize: 0 bytes/workgroup (compile time only)
; SGPRBlocks: 1
; VGPRBlocks: 1
; NumSGPRsForWavesPerEU: 16
; NumVGPRsForWavesPerEU: 6
; Occupancy: 10
; WaveLimiterHint : 0
; COMPUTE_PGM_RSRC2:SCRATCH_EN: 0
; COMPUTE_PGM_RSRC2:USER_SGPR: 6
; COMPUTE_PGM_RSRC2:TRAP_HANDLER: 0
; COMPUTE_PGM_RSRC2:TGID_X_EN: 1
; COMPUTE_PGM_RSRC2:TGID_Y_EN: 0
; COMPUTE_PGM_RSRC2:TGID_Z_EN: 0
; COMPUTE_PGM_RSRC2:TIDIG_COMP_CNT: 0
	.section	.text._ZN9rocsparseL39csr2bsr_nnz_block_dim_equals_one_kernelILj256EllEEvT1_21rocsparse_index_base_PKT0_S2_PS3_,"axG",@progbits,_ZN9rocsparseL39csr2bsr_nnz_block_dim_equals_one_kernelILj256EllEEvT1_21rocsparse_index_base_PKT0_S2_PS3_,comdat
	.globl	_ZN9rocsparseL39csr2bsr_nnz_block_dim_equals_one_kernelILj256EllEEvT1_21rocsparse_index_base_PKT0_S2_PS3_ ; -- Begin function _ZN9rocsparseL39csr2bsr_nnz_block_dim_equals_one_kernelILj256EllEEvT1_21rocsparse_index_base_PKT0_S2_PS3_
	.p2align	8
	.type	_ZN9rocsparseL39csr2bsr_nnz_block_dim_equals_one_kernelILj256EllEEvT1_21rocsparse_index_base_PKT0_S2_PS3_,@function
_ZN9rocsparseL39csr2bsr_nnz_block_dim_equals_one_kernelILj256EllEEvT1_21rocsparse_index_base_PKT0_S2_PS3_: ; @_ZN9rocsparseL39csr2bsr_nnz_block_dim_equals_one_kernelILj256EllEEvT1_21rocsparse_index_base_PKT0_S2_PS3_
; %bb.0:
	s_load_dwordx2 s[0:1], s[4:5], 0x0
	v_lshl_or_b32 v0, s6, 8, v0
	v_mov_b32_e32 v1, 0
	s_waitcnt lgkmcnt(0)
	v_cmp_ge_i64_e32 vcc, s[0:1], v[0:1]
	s_and_saveexec_b64 s[0:1], vcc
	s_cbranch_execz .LBB34_2
; %bb.1:
	s_load_dwordx2 s[0:1], s[4:5], 0x10
	s_load_dword s2, s[4:5], 0x18
	s_load_dword s3, s[4:5], 0x8
	v_lshlrev_b64 v[0:1], 3, v[0:1]
	s_waitcnt lgkmcnt(0)
	v_mov_b32_e32 v3, s1
	v_add_co_u32_e32 v2, vcc, s0, v0
	v_addc_co_u32_e32 v3, vcc, v3, v1, vcc
	global_load_dwordx2 v[2:3], v[2:3], off
	s_load_dwordx2 s[0:1], s[4:5], 0x20
	s_waitcnt lgkmcnt(0)
	v_mov_b32_e32 v4, s1
	s_sub_u32 s1, s2, s3
	v_add_co_u32_e32 v0, vcc, s0, v0
	v_addc_co_u32_e32 v1, vcc, v4, v1, vcc
	s_subb_u32 s0, 0, 0
	v_mov_b32_e32 v4, s0
	s_waitcnt vmcnt(0)
	v_add_co_u32_e32 v2, vcc, s1, v2
	v_addc_co_u32_e32 v3, vcc, v4, v3, vcc
	global_store_dwordx2 v[0:1], v[2:3], off
.LBB34_2:
	s_endpgm
	.section	.rodata,"a",@progbits
	.p2align	6, 0x0
	.amdhsa_kernel _ZN9rocsparseL39csr2bsr_nnz_block_dim_equals_one_kernelILj256EllEEvT1_21rocsparse_index_base_PKT0_S2_PS3_
		.amdhsa_group_segment_fixed_size 0
		.amdhsa_private_segment_fixed_size 0
		.amdhsa_kernarg_size 40
		.amdhsa_user_sgpr_count 6
		.amdhsa_user_sgpr_private_segment_buffer 1
		.amdhsa_user_sgpr_dispatch_ptr 0
		.amdhsa_user_sgpr_queue_ptr 0
		.amdhsa_user_sgpr_kernarg_segment_ptr 1
		.amdhsa_user_sgpr_dispatch_id 0
		.amdhsa_user_sgpr_flat_scratch_init 0
		.amdhsa_user_sgpr_private_segment_size 0
		.amdhsa_uses_dynamic_stack 0
		.amdhsa_system_sgpr_private_segment_wavefront_offset 0
		.amdhsa_system_sgpr_workgroup_id_x 1
		.amdhsa_system_sgpr_workgroup_id_y 0
		.amdhsa_system_sgpr_workgroup_id_z 0
		.amdhsa_system_sgpr_workgroup_info 0
		.amdhsa_system_vgpr_workitem_id 0
		.amdhsa_next_free_vgpr 5
		.amdhsa_next_free_sgpr 7
		.amdhsa_reserve_vcc 1
		.amdhsa_reserve_flat_scratch 0
		.amdhsa_float_round_mode_32 0
		.amdhsa_float_round_mode_16_64 0
		.amdhsa_float_denorm_mode_32 3
		.amdhsa_float_denorm_mode_16_64 3
		.amdhsa_dx10_clamp 1
		.amdhsa_ieee_mode 1
		.amdhsa_fp16_overflow 0
		.amdhsa_exception_fp_ieee_invalid_op 0
		.amdhsa_exception_fp_denorm_src 0
		.amdhsa_exception_fp_ieee_div_zero 0
		.amdhsa_exception_fp_ieee_overflow 0
		.amdhsa_exception_fp_ieee_underflow 0
		.amdhsa_exception_fp_ieee_inexact 0
		.amdhsa_exception_int_div_zero 0
	.end_amdhsa_kernel
	.section	.text._ZN9rocsparseL39csr2bsr_nnz_block_dim_equals_one_kernelILj256EllEEvT1_21rocsparse_index_base_PKT0_S2_PS3_,"axG",@progbits,_ZN9rocsparseL39csr2bsr_nnz_block_dim_equals_one_kernelILj256EllEEvT1_21rocsparse_index_base_PKT0_S2_PS3_,comdat
.Lfunc_end34:
	.size	_ZN9rocsparseL39csr2bsr_nnz_block_dim_equals_one_kernelILj256EllEEvT1_21rocsparse_index_base_PKT0_S2_PS3_, .Lfunc_end34-_ZN9rocsparseL39csr2bsr_nnz_block_dim_equals_one_kernelILj256EllEEvT1_21rocsparse_index_base_PKT0_S2_PS3_
                                        ; -- End function
	.set _ZN9rocsparseL39csr2bsr_nnz_block_dim_equals_one_kernelILj256EllEEvT1_21rocsparse_index_base_PKT0_S2_PS3_.num_vgpr, 5
	.set _ZN9rocsparseL39csr2bsr_nnz_block_dim_equals_one_kernelILj256EllEEvT1_21rocsparse_index_base_PKT0_S2_PS3_.num_agpr, 0
	.set _ZN9rocsparseL39csr2bsr_nnz_block_dim_equals_one_kernelILj256EllEEvT1_21rocsparse_index_base_PKT0_S2_PS3_.numbered_sgpr, 7
	.set _ZN9rocsparseL39csr2bsr_nnz_block_dim_equals_one_kernelILj256EllEEvT1_21rocsparse_index_base_PKT0_S2_PS3_.num_named_barrier, 0
	.set _ZN9rocsparseL39csr2bsr_nnz_block_dim_equals_one_kernelILj256EllEEvT1_21rocsparse_index_base_PKT0_S2_PS3_.private_seg_size, 0
	.set _ZN9rocsparseL39csr2bsr_nnz_block_dim_equals_one_kernelILj256EllEEvT1_21rocsparse_index_base_PKT0_S2_PS3_.uses_vcc, 1
	.set _ZN9rocsparseL39csr2bsr_nnz_block_dim_equals_one_kernelILj256EllEEvT1_21rocsparse_index_base_PKT0_S2_PS3_.uses_flat_scratch, 0
	.set _ZN9rocsparseL39csr2bsr_nnz_block_dim_equals_one_kernelILj256EllEEvT1_21rocsparse_index_base_PKT0_S2_PS3_.has_dyn_sized_stack, 0
	.set _ZN9rocsparseL39csr2bsr_nnz_block_dim_equals_one_kernelILj256EllEEvT1_21rocsparse_index_base_PKT0_S2_PS3_.has_recursion, 0
	.set _ZN9rocsparseL39csr2bsr_nnz_block_dim_equals_one_kernelILj256EllEEvT1_21rocsparse_index_base_PKT0_S2_PS3_.has_indirect_call, 0
	.section	.AMDGPU.csdata,"",@progbits
; Kernel info:
; codeLenInByte = 152
; TotalNumSgprs: 11
; NumVgprs: 5
; ScratchSize: 0
; MemoryBound: 0
; FloatMode: 240
; IeeeMode: 1
; LDSByteSize: 0 bytes/workgroup (compile time only)
; SGPRBlocks: 1
; VGPRBlocks: 1
; NumSGPRsForWavesPerEU: 11
; NumVGPRsForWavesPerEU: 5
; Occupancy: 10
; WaveLimiterHint : 0
; COMPUTE_PGM_RSRC2:SCRATCH_EN: 0
; COMPUTE_PGM_RSRC2:USER_SGPR: 6
; COMPUTE_PGM_RSRC2:TRAP_HANDLER: 0
; COMPUTE_PGM_RSRC2:TGID_X_EN: 1
; COMPUTE_PGM_RSRC2:TGID_Y_EN: 0
; COMPUTE_PGM_RSRC2:TGID_Z_EN: 0
; COMPUTE_PGM_RSRC2:TIDIG_COMP_CNT: 0
	.section	.text._ZN9rocsparseL46csr2bsr_nnz_wavefront_per_row_multipass_kernelILj256ELj16ELj4EllEEvT3_S1_S1_S1_S1_21rocsparse_index_base_PKT2_PKS1_S2_PS3_,"axG",@progbits,_ZN9rocsparseL46csr2bsr_nnz_wavefront_per_row_multipass_kernelILj256ELj16ELj4EllEEvT3_S1_S1_S1_S1_21rocsparse_index_base_PKT2_PKS1_S2_PS3_,comdat
	.globl	_ZN9rocsparseL46csr2bsr_nnz_wavefront_per_row_multipass_kernelILj256ELj16ELj4EllEEvT3_S1_S1_S1_S1_21rocsparse_index_base_PKT2_PKS1_S2_PS3_ ; -- Begin function _ZN9rocsparseL46csr2bsr_nnz_wavefront_per_row_multipass_kernelILj256ELj16ELj4EllEEvT3_S1_S1_S1_S1_21rocsparse_index_base_PKT2_PKS1_S2_PS3_
	.p2align	8
	.type	_ZN9rocsparseL46csr2bsr_nnz_wavefront_per_row_multipass_kernelILj256ELj16ELj4EllEEvT3_S1_S1_S1_S1_21rocsparse_index_base_PKT2_PKS1_S2_PS3_,@function
_ZN9rocsparseL46csr2bsr_nnz_wavefront_per_row_multipass_kernelILj256ELj16ELj4EllEEvT3_S1_S1_S1_S1_21rocsparse_index_base_PKT2_PKS1_S2_PS3_: ; @_ZN9rocsparseL46csr2bsr_nnz_wavefront_per_row_multipass_kernelILj256ELj16ELj4EllEEvT3_S1_S1_S1_S1_21rocsparse_index_base_PKT2_PKS1_S2_PS3_
; %bb.0:
	s_load_dwordx2 s[12:13], s[4:5], 0x20
	s_load_dword s28, s[4:5], 0x28
	s_load_dwordx2 s[2:3], s[4:5], 0x30
	s_ashr_i32 s7, s6, 31
	v_lshrrev_b32_e32 v18, 4, v0
	s_lshl_b64 s[0:1], s[6:7], 4
	v_bfe_u32 v1, v0, 2, 2
	v_mov_b32_e32 v2, 0
	v_or_b32_e32 v3, s0, v18
	s_waitcnt lgkmcnt(0)
	v_mul_lo_u32 v5, v3, s13
	v_mad_u64_u32 v[3:4], s[8:9], v3, s12, v[1:2]
	s_load_dwordx2 s[14:15], s[4:5], 0x0
	s_load_dwordx4 s[8:11], s[4:5], 0x10
	s_mul_i32 s0, s1, s12
	v_add3_u32 v4, s0, v4, v5
	v_cmp_gt_i64_e64 s[0:1], s[12:13], v[1:2]
	s_waitcnt lgkmcnt(0)
	v_cmp_gt_i64_e32 vcc, s[14:15], v[3:4]
	v_mov_b32_e32 v5, v2
	v_mov_b32_e32 v6, v2
	;; [unrolled: 1-line block ×4, first 2 shown]
	v_lshlrev_b32_e32 v17, 3, v18
	v_mov_b32_e32 v2, 0
	v_mov_b32_e32 v10, 0
	s_and_b64 s[0:1], s[0:1], vcc
	ds_write_b64 v17, v[5:6]
	s_waitcnt lgkmcnt(0)
	s_barrier
	s_and_saveexec_b64 s[14:15], s[0:1]
	s_cbranch_execz .LBB35_2
; %bb.1:
	v_lshlrev_b64 v[5:6], 3, v[3:4]
	v_mov_b32_e32 v7, s3
	v_add_co_u32_e32 v5, vcc, s2, v5
	v_addc_co_u32_e32 v6, vcc, v7, v6, vcc
	global_load_dwordx2 v[5:6], v[5:6], off
	s_waitcnt vmcnt(0)
	v_subrev_co_u32_e32 v9, vcc, s28, v5
	v_subbrev_co_u32_e32 v10, vcc, 0, v6, vcc
.LBB35_2:
	s_or_b64 exec, exec, s[14:15]
	s_and_saveexec_b64 s[14:15], s[0:1]
	s_cbranch_execz .LBB35_4
; %bb.3:
	v_lshlrev_b64 v[1:2], 3, v[3:4]
	v_mov_b32_e32 v3, s3
	v_add_co_u32_e32 v1, vcc, s2, v1
	v_addc_co_u32_e32 v2, vcc, v3, v2, vcc
	global_load_dwordx2 v[1:2], v[1:2], off offset:8
	s_waitcnt vmcnt(0)
	v_subrev_co_u32_e32 v1, vcc, s28, v1
	v_subbrev_co_u32_e32 v2, vcc, 0, v2, vcc
.LBB35_4:
	s_or_b64 exec, exec, s[14:15]
	v_cmp_lt_i64_e64 s[0:1], s[10:11], 1
	v_and_b32_e32 v19, 15, v0
	s_and_b64 vcc, exec, s[0:1]
	v_cmp_eq_u32_e64 s[0:1], 0, v19
	s_cbranch_vccnz .LBB35_22
; %bb.5:
	s_load_dwordx2 s[14:15], s[4:5], 0x38
	v_mbcnt_lo_u32_b32 v4, -1, 0
	v_mbcnt_hi_u32_b32 v4, -1, v4
	v_lshlrev_b32_e32 v4, 2, v4
	v_mov_b32_e32 v7, 0
	v_and_b32_e32 v0, 3, v0
	v_mov_b32_e32 v3, 0
	v_or_b32_e32 v20, 12, v4
	v_or_b32_e32 v21, 60, v4
	s_mov_b64 s[16:17], 0
	v_mov_b32_e32 v8, 0
	v_mov_b32_e32 v22, 1
	s_ashr_i32 s18, s13, 31
	s_branch .LBB35_7
.LBB35_6:                               ;   in Loop: Header=BB35_7 Depth=1
	s_or_b64 exec, exec, s[2:3]
	v_mov_b32_dpp v7, v5 row_shr:1 row_mask:0xf bank_mask:0xf
	v_mov_b32_dpp v8, v6 row_shr:1 row_mask:0xf bank_mask:0xf
	v_cmp_lt_i64_e32 vcc, v[7:8], v[5:6]
	s_waitcnt lgkmcnt(0)
	v_cndmask_b32_e32 v6, v6, v8, vcc
	v_cndmask_b32_e32 v5, v5, v7, vcc
	s_nop 0
	v_mov_b32_dpp v8, v6 row_shr:2 row_mask:0xf bank_mask:0xf
	v_mov_b32_dpp v7, v5 row_shr:2 row_mask:0xf bank_mask:0xf
	v_cmp_lt_i64_e32 vcc, v[7:8], v[5:6]
	v_cndmask_b32_e32 v6, v6, v8, vcc
	v_cndmask_b32_e32 v5, v5, v7, vcc
	s_nop 0
	v_mov_b32_dpp v8, v6 row_shr:4 row_mask:0xf bank_mask:0xe
	v_mov_b32_dpp v7, v5 row_shr:4 row_mask:0xf bank_mask:0xe
	v_cmp_lt_i64_e32 vcc, v[7:8], v[5:6]
	;; [unrolled: 6-line block ×3, first 2 shown]
	v_cndmask_b32_e32 v4, v6, v8, vcc
	v_cndmask_b32_e32 v5, v5, v7, vcc
	ds_bpermute_b32 v7, v21, v5
	ds_bpermute_b32 v8, v21, v4
	s_waitcnt lgkmcnt(0)
	v_cmp_le_i64_e32 vcc, s[10:11], v[7:8]
	s_or_b64 s[16:17], vcc, s[16:17]
	s_andn2_b64 exec, exec, s[16:17]
	s_cbranch_execz .LBB35_21
.LBB35_7:                               ; =>This Loop Header: Depth=1
                                        ;     Child Loop BB35_10 Depth 2
	v_add_co_u32_e32 v9, vcc, v9, v0
	v_addc_co_u32_e32 v10, vcc, 0, v10, vcc
	v_cmp_lt_i64_e32 vcc, v[9:10], v[1:2]
	v_mov_b32_e32 v5, s10
	v_mov_b32_e32 v16, v2
	;; [unrolled: 1-line block ×4, first 2 shown]
	ds_write_b8 v18, v3 offset:128
	s_waitcnt lgkmcnt(0)
	s_and_saveexec_b64 s[20:21], vcc
	s_cbranch_execz .LBB35_19
; %bb.8:                                ;   in Loop: Header=BB35_7 Depth=1
	v_lshlrev_b64 v[4:5], 3, v[9:10]
	v_mov_b32_e32 v6, s15
	v_add_co_u32_e32 v11, vcc, s14, v4
	v_addc_co_u32_e32 v12, vcc, v6, v5, vcc
	v_mov_b32_e32 v5, s10
	v_mov_b32_e32 v14, v2
	s_mov_b64 s[22:23], 0
	v_mov_b32_e32 v6, s11
	v_mov_b32_e32 v13, v1
	s_branch .LBB35_10
.LBB35_9:                               ;   in Loop: Header=BB35_10 Depth=2
	s_or_b64 exec, exec, s[2:3]
	v_add_co_u32_e64 v9, s[2:3], 4, v9
	v_addc_co_u32_e64 v10, s[2:3], 0, v10, s[2:3]
	v_cmp_ge_i64_e64 s[2:3], v[9:10], v[1:2]
	s_xor_b64 s[24:25], vcc, -1
	s_or_b64 s[2:3], s[24:25], s[2:3]
	v_add_co_u32_e32 v11, vcc, 32, v11
	s_and_b64 s[2:3], exec, s[2:3]
	v_mov_b32_e32 v13, v15
	v_addc_co_u32_e32 v12, vcc, 0, v12, vcc
	s_or_b64 s[22:23], s[2:3], s[22:23]
	v_mov_b32_e32 v14, v16
	s_andn2_b64 exec, exec, s[22:23]
	s_cbranch_execz .LBB35_18
.LBB35_10:                              ;   Parent Loop BB35_7 Depth=1
                                        ; =>  This Inner Loop Header: Depth=2
	global_load_dwordx2 v[15:16], v[11:12], off
	s_waitcnt vmcnt(0)
	v_subrev_co_u32_e32 v23, vcc, s28, v15
	v_subbrev_co_u32_e32 v24, vcc, 0, v16, vcc
	v_or_b32_e32 v4, s13, v24
	v_cmp_ne_u64_e32 vcc, 0, v[3:4]
                                        ; implicit-def: $vgpr15_vgpr16
	s_and_saveexec_b64 s[2:3], vcc
	s_xor_b64 s[24:25], exec, s[2:3]
	s_cbranch_execz .LBB35_12
; %bb.11:                               ;   in Loop: Header=BB35_10 Depth=2
	s_add_u32 s2, s12, s18
	s_mov_b32 s19, s18
	s_addc_u32 s3, s13, s18
	s_xor_b64 s[26:27], s[2:3], s[18:19]
	v_cvt_f32_u32_e32 v4, s26
	v_cvt_f32_u32_e32 v15, s27
	s_sub_u32 s7, 0, s26
	s_subb_u32 s19, 0, s27
	v_mac_f32_e32 v4, 0x4f800000, v15
	v_rcp_f32_e32 v4, v4
	v_mul_f32_e32 v4, 0x5f7ffffc, v4
	v_mul_f32_e32 v15, 0x2f800000, v4
	v_trunc_f32_e32 v15, v15
	v_mac_f32_e32 v4, 0xcf800000, v15
	v_cvt_u32_f32_e32 v15, v15
	v_cvt_u32_f32_e32 v4, v4
	v_readfirstlane_b32 s29, v15
	v_readfirstlane_b32 s2, v4
	s_mul_i32 s3, s7, s29
	s_mul_hi_u32 s31, s7, s2
	s_mul_i32 s30, s19, s2
	s_add_i32 s3, s31, s3
	s_add_i32 s3, s3, s30
	s_mul_i32 s33, s7, s2
	s_mul_i32 s31, s2, s3
	s_mul_hi_u32 s34, s2, s33
	s_mul_hi_u32 s30, s2, s3
	s_add_u32 s31, s34, s31
	s_addc_u32 s30, 0, s30
	s_mul_hi_u32 s35, s29, s33
	s_mul_i32 s33, s29, s33
	s_add_u32 s31, s31, s33
	s_mul_hi_u32 s34, s29, s3
	s_addc_u32 s30, s30, s35
	s_addc_u32 s31, s34, 0
	s_mul_i32 s3, s29, s3
	s_add_u32 s3, s30, s3
	s_addc_u32 s30, 0, s31
	s_add_u32 s31, s2, s3
	s_cselect_b64 s[2:3], -1, 0
	s_cmp_lg_u64 s[2:3], 0
	s_addc_u32 s29, s29, s30
	s_mul_i32 s2, s7, s29
	s_mul_hi_u32 s3, s7, s31
	s_add_i32 s2, s3, s2
	s_mul_i32 s19, s19, s31
	s_add_i32 s2, s2, s19
	s_mul_i32 s7, s7, s31
	s_mul_hi_u32 s19, s29, s7
	s_mul_i32 s30, s29, s7
	s_mul_i32 s34, s31, s2
	s_mul_hi_u32 s7, s31, s7
	s_mul_hi_u32 s33, s31, s2
	s_add_u32 s7, s7, s34
	s_addc_u32 s33, 0, s33
	s_add_u32 s7, s7, s30
	s_mul_hi_u32 s3, s29, s2
	s_addc_u32 s7, s33, s19
	s_addc_u32 s3, s3, 0
	s_mul_i32 s2, s29, s2
	s_add_u32 s2, s7, s2
	s_addc_u32 s7, 0, s3
	s_add_u32 s19, s31, s2
	s_cselect_b64 s[2:3], -1, 0
	v_ashrrev_i32_e32 v4, 31, v24
	s_cmp_lg_u64 s[2:3], 0
	v_add_co_u32_e32 v15, vcc, v23, v4
	s_addc_u32 s7, s29, s7
	v_xor_b32_e32 v25, v15, v4
	v_addc_co_u32_e32 v23, vcc, v24, v4, vcc
	v_mad_u64_u32 v[15:16], s[2:3], v25, s7, 0
	v_mul_hi_u32 v24, v25, s19
	v_xor_b32_e32 v26, v23, v4
	v_xor_b32_e32 v4, s18, v4
	v_add_co_u32_e32 v27, vcc, v24, v15
	v_addc_co_u32_e32 v28, vcc, 0, v16, vcc
	v_mad_u64_u32 v[15:16], s[2:3], v26, s19, 0
	v_mad_u64_u32 v[23:24], s[2:3], v26, s7, 0
	v_add_co_u32_e32 v15, vcc, v27, v15
	v_addc_co_u32_e32 v15, vcc, v28, v16, vcc
	v_addc_co_u32_e32 v16, vcc, 0, v24, vcc
	v_add_co_u32_e32 v23, vcc, v15, v23
	v_addc_co_u32_e32 v24, vcc, 0, v16, vcc
	v_mul_lo_u32 v27, s27, v23
	v_mul_lo_u32 v28, s26, v24
	v_mad_u64_u32 v[15:16], s[2:3], s26, v23, 0
	v_add3_u32 v16, v16, v28, v27
	v_sub_u32_e32 v27, v26, v16
	v_mov_b32_e32 v28, s27
	v_sub_co_u32_e32 v15, vcc, v25, v15
	v_subb_co_u32_e64 v25, s[2:3], v27, v28, vcc
	v_subrev_co_u32_e64 v27, s[2:3], s26, v15
	v_subbrev_co_u32_e64 v25, s[2:3], 0, v25, s[2:3]
	v_cmp_le_u32_e64 s[2:3], s27, v25
	v_cndmask_b32_e64 v28, 0, -1, s[2:3]
	v_cmp_le_u32_e64 s[2:3], s26, v27
	v_cndmask_b32_e64 v27, 0, -1, s[2:3]
	v_cmp_eq_u32_e64 s[2:3], s27, v25
	v_cndmask_b32_e64 v25, v28, v27, s[2:3]
	v_add_co_u32_e64 v27, s[2:3], 2, v23
	v_subb_co_u32_e32 v16, vcc, v26, v16, vcc
	v_addc_co_u32_e64 v28, s[2:3], 0, v24, s[2:3]
	v_cmp_le_u32_e32 vcc, s27, v16
	v_add_co_u32_e64 v29, s[2:3], 1, v23
	v_cndmask_b32_e64 v26, 0, -1, vcc
	v_cmp_le_u32_e32 vcc, s26, v15
	v_addc_co_u32_e64 v30, s[2:3], 0, v24, s[2:3]
	v_cndmask_b32_e64 v15, 0, -1, vcc
	v_cmp_eq_u32_e32 vcc, s27, v16
	v_cmp_ne_u32_e64 s[2:3], 0, v25
	v_cndmask_b32_e32 v15, v26, v15, vcc
	v_cndmask_b32_e64 v25, v30, v28, s[2:3]
	v_cmp_ne_u32_e32 vcc, 0, v15
	v_cndmask_b32_e64 v16, v29, v27, s[2:3]
	v_cndmask_b32_e32 v15, v24, v25, vcc
	v_cndmask_b32_e32 v16, v23, v16, vcc
	v_xor_b32_e32 v23, v15, v4
	v_xor_b32_e32 v15, v16, v4
	v_sub_co_u32_e32 v15, vcc, v15, v4
	v_subb_co_u32_e32 v16, vcc, v23, v4, vcc
                                        ; implicit-def: $vgpr23
.LBB35_12:                              ;   in Loop: Header=BB35_10 Depth=2
	s_andn2_saveexec_b64 s[24:25], s[24:25]
	s_cbranch_execz .LBB35_14
; %bb.13:                               ;   in Loop: Header=BB35_10 Depth=2
	v_cvt_f32_u32_e32 v4, s12
	s_sub_i32 s2, 0, s12
	v_rcp_iflag_f32_e32 v4, v4
	v_mul_f32_e32 v4, 0x4f7ffffe, v4
	v_cvt_u32_f32_e32 v4, v4
	v_mul_lo_u32 v15, s2, v4
	v_mul_hi_u32 v15, v4, v15
	v_add_u32_e32 v4, v4, v15
	v_mul_hi_u32 v4, v23, v4
	v_mul_lo_u32 v15, v4, s12
	v_sub_u32_e32 v15, v23, v15
	v_cmp_le_u32_e32 vcc, s12, v15
	v_subrev_u32_e32 v16, s12, v15
	v_cndmask_b32_e32 v15, v15, v16, vcc
	v_cmp_le_u32_e64 s[2:3], s12, v15
	v_add_u32_e32 v15, 1, v4
	v_cndmask_b32_e32 v4, v4, v15, vcc
	v_add_u32_e32 v15, 1, v4
	v_cndmask_b32_e64 v15, v4, v15, s[2:3]
	v_mov_b32_e32 v16, v3
.LBB35_14:                              ;   in Loop: Header=BB35_10 Depth=2
	s_or_b64 exec, exec, s[24:25]
	v_cmp_eq_u64_e32 vcc, v[15:16], v[7:8]
	v_cmp_ne_u64_e64 s[2:3], v[15:16], v[7:8]
	s_and_saveexec_b64 s[24:25], s[2:3]
	s_xor_b64 s[24:25], exec, s[24:25]
; %bb.15:                               ;   in Loop: Header=BB35_10 Depth=2
	v_cmp_lt_i64_e64 s[2:3], v[15:16], v[5:6]
                                        ; implicit-def: $vgpr13_vgpr14
	v_cndmask_b32_e64 v6, v6, v16, s[2:3]
	v_cndmask_b32_e64 v5, v5, v15, s[2:3]
; %bb.16:                               ;   in Loop: Header=BB35_10 Depth=2
	s_or_saveexec_b64 s[2:3], s[24:25]
	v_mov_b32_e32 v16, v10
	v_mov_b32_e32 v15, v9
	s_xor_b64 exec, exec, s[2:3]
	s_cbranch_execz .LBB35_9
; %bb.17:                               ;   in Loop: Header=BB35_10 Depth=2
	v_mov_b32_e32 v16, v14
	v_mov_b32_e32 v15, v13
	ds_write_b8 v18, v22 offset:128
	s_branch .LBB35_9
.LBB35_18:                              ;   in Loop: Header=BB35_7 Depth=1
	s_or_b64 exec, exec, s[22:23]
.LBB35_19:                              ;   in Loop: Header=BB35_7 Depth=1
	s_or_b64 exec, exec, s[20:21]
	v_mov_b32_dpp v7, v15 row_shr:1 row_mask:0xf bank_mask:0xf
	v_mov_b32_dpp v8, v16 row_shr:1 row_mask:0xf bank_mask:0xf
	v_cmp_lt_i64_e32 vcc, v[7:8], v[15:16]
	s_waitcnt lgkmcnt(0)
	v_cndmask_b32_e32 v8, v16, v8, vcc
	v_cndmask_b32_e32 v7, v15, v7, vcc
	s_nop 0
	v_mov_b32_dpp v10, v8 row_shr:2 row_mask:0xf bank_mask:0xf
	v_mov_b32_dpp v9, v7 row_shr:2 row_mask:0xf bank_mask:0xf
	v_cmp_lt_i64_e32 vcc, v[9:10], v[7:8]
	v_cndmask_b32_e32 v4, v8, v10, vcc
	ds_read_u8 v8, v18 offset:128
	v_cndmask_b32_e32 v7, v7, v9, vcc
	ds_bpermute_b32 v9, v20, v7
	ds_bpermute_b32 v10, v20, v4
	s_waitcnt lgkmcnt(2)
	v_and_b32_e32 v4, 1, v8
	v_cmp_eq_u32_e32 vcc, 1, v4
	s_and_b64 s[20:21], s[0:1], vcc
	s_and_saveexec_b64 s[2:3], s[20:21]
	s_cbranch_execz .LBB35_6
; %bb.20:                               ;   in Loop: Header=BB35_7 Depth=1
	ds_read_b64 v[7:8], v17
	s_waitcnt lgkmcnt(0)
	v_add_co_u32_e32 v7, vcc, 1, v7
	v_addc_co_u32_e32 v8, vcc, 0, v8, vcc
	ds_write_b64 v17, v[7:8]
	s_branch .LBB35_6
.LBB35_21:
	s_or_b64 exec, exec, s[16:17]
.LBB35_22:
	v_cmp_eq_u32_e32 vcc, 0, v19
	s_and_saveexec_b64 s[0:1], vcc
	s_cbranch_execz .LBB35_25
; %bb.23:
	s_load_dword s2, s[4:5], 0x40
	s_load_dwordx2 s[0:1], s[4:5], 0x48
	v_mov_b32_e32 v1, 0
	s_waitcnt lgkmcnt(0)
	v_mov_b32_e32 v0, s2
	global_store_dwordx2 v1, v[0:1], s[0:1]
	v_lshl_or_b32 v0, s6, 4, v18
	v_cmp_gt_i64_e32 vcc, s[8:9], v[0:1]
	s_and_b64 exec, exec, vcc
	s_cbranch_execz .LBB35_25
; %bb.24:
	v_add_u32_e32 v0, 1, v0
	ds_read_b64 v[2:3], v17
	v_lshlrev_b64 v[0:1], 3, v[0:1]
	v_mov_b32_e32 v4, s1
	v_add_co_u32_e32 v0, vcc, s0, v0
	v_addc_co_u32_e32 v1, vcc, v4, v1, vcc
	s_waitcnt lgkmcnt(0)
	global_store_dwordx2 v[0:1], v[2:3], off
.LBB35_25:
	s_endpgm
	.section	.rodata,"a",@progbits
	.p2align	6, 0x0
	.amdhsa_kernel _ZN9rocsparseL46csr2bsr_nnz_wavefront_per_row_multipass_kernelILj256ELj16ELj4EllEEvT3_S1_S1_S1_S1_21rocsparse_index_base_PKT2_PKS1_S2_PS3_
		.amdhsa_group_segment_fixed_size 144
		.amdhsa_private_segment_fixed_size 0
		.amdhsa_kernarg_size 80
		.amdhsa_user_sgpr_count 6
		.amdhsa_user_sgpr_private_segment_buffer 1
		.amdhsa_user_sgpr_dispatch_ptr 0
		.amdhsa_user_sgpr_queue_ptr 0
		.amdhsa_user_sgpr_kernarg_segment_ptr 1
		.amdhsa_user_sgpr_dispatch_id 0
		.amdhsa_user_sgpr_flat_scratch_init 0
		.amdhsa_user_sgpr_private_segment_size 0
		.amdhsa_uses_dynamic_stack 0
		.amdhsa_system_sgpr_private_segment_wavefront_offset 0
		.amdhsa_system_sgpr_workgroup_id_x 1
		.amdhsa_system_sgpr_workgroup_id_y 0
		.amdhsa_system_sgpr_workgroup_id_z 0
		.amdhsa_system_sgpr_workgroup_info 0
		.amdhsa_system_vgpr_workitem_id 0
		.amdhsa_next_free_vgpr 31
		.amdhsa_next_free_sgpr 36
		.amdhsa_reserve_vcc 1
		.amdhsa_reserve_flat_scratch 0
		.amdhsa_float_round_mode_32 0
		.amdhsa_float_round_mode_16_64 0
		.amdhsa_float_denorm_mode_32 3
		.amdhsa_float_denorm_mode_16_64 3
		.amdhsa_dx10_clamp 1
		.amdhsa_ieee_mode 1
		.amdhsa_fp16_overflow 0
		.amdhsa_exception_fp_ieee_invalid_op 0
		.amdhsa_exception_fp_denorm_src 0
		.amdhsa_exception_fp_ieee_div_zero 0
		.amdhsa_exception_fp_ieee_overflow 0
		.amdhsa_exception_fp_ieee_underflow 0
		.amdhsa_exception_fp_ieee_inexact 0
		.amdhsa_exception_int_div_zero 0
	.end_amdhsa_kernel
	.section	.text._ZN9rocsparseL46csr2bsr_nnz_wavefront_per_row_multipass_kernelILj256ELj16ELj4EllEEvT3_S1_S1_S1_S1_21rocsparse_index_base_PKT2_PKS1_S2_PS3_,"axG",@progbits,_ZN9rocsparseL46csr2bsr_nnz_wavefront_per_row_multipass_kernelILj256ELj16ELj4EllEEvT3_S1_S1_S1_S1_21rocsparse_index_base_PKT2_PKS1_S2_PS3_,comdat
.Lfunc_end35:
	.size	_ZN9rocsparseL46csr2bsr_nnz_wavefront_per_row_multipass_kernelILj256ELj16ELj4EllEEvT3_S1_S1_S1_S1_21rocsparse_index_base_PKT2_PKS1_S2_PS3_, .Lfunc_end35-_ZN9rocsparseL46csr2bsr_nnz_wavefront_per_row_multipass_kernelILj256ELj16ELj4EllEEvT3_S1_S1_S1_S1_21rocsparse_index_base_PKT2_PKS1_S2_PS3_
                                        ; -- End function
	.set _ZN9rocsparseL46csr2bsr_nnz_wavefront_per_row_multipass_kernelILj256ELj16ELj4EllEEvT3_S1_S1_S1_S1_21rocsparse_index_base_PKT2_PKS1_S2_PS3_.num_vgpr, 31
	.set _ZN9rocsparseL46csr2bsr_nnz_wavefront_per_row_multipass_kernelILj256ELj16ELj4EllEEvT3_S1_S1_S1_S1_21rocsparse_index_base_PKT2_PKS1_S2_PS3_.num_agpr, 0
	.set _ZN9rocsparseL46csr2bsr_nnz_wavefront_per_row_multipass_kernelILj256ELj16ELj4EllEEvT3_S1_S1_S1_S1_21rocsparse_index_base_PKT2_PKS1_S2_PS3_.numbered_sgpr, 36
	.set _ZN9rocsparseL46csr2bsr_nnz_wavefront_per_row_multipass_kernelILj256ELj16ELj4EllEEvT3_S1_S1_S1_S1_21rocsparse_index_base_PKT2_PKS1_S2_PS3_.num_named_barrier, 0
	.set _ZN9rocsparseL46csr2bsr_nnz_wavefront_per_row_multipass_kernelILj256ELj16ELj4EllEEvT3_S1_S1_S1_S1_21rocsparse_index_base_PKT2_PKS1_S2_PS3_.private_seg_size, 0
	.set _ZN9rocsparseL46csr2bsr_nnz_wavefront_per_row_multipass_kernelILj256ELj16ELj4EllEEvT3_S1_S1_S1_S1_21rocsparse_index_base_PKT2_PKS1_S2_PS3_.uses_vcc, 1
	.set _ZN9rocsparseL46csr2bsr_nnz_wavefront_per_row_multipass_kernelILj256ELj16ELj4EllEEvT3_S1_S1_S1_S1_21rocsparse_index_base_PKT2_PKS1_S2_PS3_.uses_flat_scratch, 0
	.set _ZN9rocsparseL46csr2bsr_nnz_wavefront_per_row_multipass_kernelILj256ELj16ELj4EllEEvT3_S1_S1_S1_S1_21rocsparse_index_base_PKT2_PKS1_S2_PS3_.has_dyn_sized_stack, 0
	.set _ZN9rocsparseL46csr2bsr_nnz_wavefront_per_row_multipass_kernelILj256ELj16ELj4EllEEvT3_S1_S1_S1_S1_21rocsparse_index_base_PKT2_PKS1_S2_PS3_.has_recursion, 0
	.set _ZN9rocsparseL46csr2bsr_nnz_wavefront_per_row_multipass_kernelILj256ELj16ELj4EllEEvT3_S1_S1_S1_S1_21rocsparse_index_base_PKT2_PKS1_S2_PS3_.has_indirect_call, 0
	.section	.AMDGPU.csdata,"",@progbits
; Kernel info:
; codeLenInByte = 1808
; TotalNumSgprs: 40
; NumVgprs: 31
; ScratchSize: 0
; MemoryBound: 0
; FloatMode: 240
; IeeeMode: 1
; LDSByteSize: 144 bytes/workgroup (compile time only)
; SGPRBlocks: 4
; VGPRBlocks: 7
; NumSGPRsForWavesPerEU: 40
; NumVGPRsForWavesPerEU: 31
; Occupancy: 8
; WaveLimiterHint : 0
; COMPUTE_PGM_RSRC2:SCRATCH_EN: 0
; COMPUTE_PGM_RSRC2:USER_SGPR: 6
; COMPUTE_PGM_RSRC2:TRAP_HANDLER: 0
; COMPUTE_PGM_RSRC2:TGID_X_EN: 1
; COMPUTE_PGM_RSRC2:TGID_Y_EN: 0
; COMPUTE_PGM_RSRC2:TGID_Z_EN: 0
; COMPUTE_PGM_RSRC2:TIDIG_COMP_CNT: 0
	.section	.text._ZN9rocsparseL46csr2bsr_nnz_wavefront_per_row_multipass_kernelILj256ELj64ELj8EllEEvT3_S1_S1_S1_S1_21rocsparse_index_base_PKT2_PKS1_S2_PS3_,"axG",@progbits,_ZN9rocsparseL46csr2bsr_nnz_wavefront_per_row_multipass_kernelILj256ELj64ELj8EllEEvT3_S1_S1_S1_S1_21rocsparse_index_base_PKT2_PKS1_S2_PS3_,comdat
	.globl	_ZN9rocsparseL46csr2bsr_nnz_wavefront_per_row_multipass_kernelILj256ELj64ELj8EllEEvT3_S1_S1_S1_S1_21rocsparse_index_base_PKT2_PKS1_S2_PS3_ ; -- Begin function _ZN9rocsparseL46csr2bsr_nnz_wavefront_per_row_multipass_kernelILj256ELj64ELj8EllEEvT3_S1_S1_S1_S1_21rocsparse_index_base_PKT2_PKS1_S2_PS3_
	.p2align	8
	.type	_ZN9rocsparseL46csr2bsr_nnz_wavefront_per_row_multipass_kernelILj256ELj64ELj8EllEEvT3_S1_S1_S1_S1_21rocsparse_index_base_PKT2_PKS1_S2_PS3_,@function
_ZN9rocsparseL46csr2bsr_nnz_wavefront_per_row_multipass_kernelILj256ELj64ELj8EllEEvT3_S1_S1_S1_S1_21rocsparse_index_base_PKT2_PKS1_S2_PS3_: ; @_ZN9rocsparseL46csr2bsr_nnz_wavefront_per_row_multipass_kernelILj256ELj64ELj8EllEEvT3_S1_S1_S1_S1_21rocsparse_index_base_PKT2_PKS1_S2_PS3_
; %bb.0:
	s_load_dwordx2 s[12:13], s[4:5], 0x20
	s_load_dword s28, s[4:5], 0x28
	s_load_dwordx2 s[2:3], s[4:5], 0x30
	s_ashr_i32 s7, s6, 31
	v_lshrrev_b32_e32 v18, 6, v0
	s_lshl_b64 s[0:1], s[6:7], 2
	v_bfe_u32 v1, v0, 3, 3
	v_mov_b32_e32 v2, 0
	v_or_b32_e32 v3, s0, v18
	s_waitcnt lgkmcnt(0)
	v_mul_lo_u32 v5, v3, s13
	v_mad_u64_u32 v[3:4], s[8:9], v3, s12, v[1:2]
	s_load_dwordx2 s[14:15], s[4:5], 0x0
	s_load_dwordx4 s[8:11], s[4:5], 0x10
	s_mul_i32 s0, s1, s12
	v_add3_u32 v4, s0, v4, v5
	v_cmp_gt_i64_e64 s[0:1], s[12:13], v[1:2]
	s_waitcnt lgkmcnt(0)
	v_cmp_gt_i64_e32 vcc, s[14:15], v[3:4]
	v_mov_b32_e32 v5, v2
	v_mov_b32_e32 v6, v2
	;; [unrolled: 1-line block ×4, first 2 shown]
	v_lshlrev_b32_e32 v17, 3, v18
	v_mov_b32_e32 v2, 0
	v_mov_b32_e32 v10, 0
	s_and_b64 s[0:1], s[0:1], vcc
	ds_write_b64 v17, v[5:6]
	s_waitcnt lgkmcnt(0)
	s_barrier
	s_and_saveexec_b64 s[14:15], s[0:1]
	s_cbranch_execz .LBB36_2
; %bb.1:
	v_lshlrev_b64 v[5:6], 3, v[3:4]
	v_mov_b32_e32 v7, s3
	v_add_co_u32_e32 v5, vcc, s2, v5
	v_addc_co_u32_e32 v6, vcc, v7, v6, vcc
	global_load_dwordx2 v[5:6], v[5:6], off
	s_waitcnt vmcnt(0)
	v_subrev_co_u32_e32 v9, vcc, s28, v5
	v_subbrev_co_u32_e32 v10, vcc, 0, v6, vcc
.LBB36_2:
	s_or_b64 exec, exec, s[14:15]
	s_and_saveexec_b64 s[14:15], s[0:1]
	s_cbranch_execz .LBB36_4
; %bb.3:
	v_lshlrev_b64 v[1:2], 3, v[3:4]
	v_mov_b32_e32 v3, s3
	v_add_co_u32_e32 v1, vcc, s2, v1
	v_addc_co_u32_e32 v2, vcc, v3, v2, vcc
	global_load_dwordx2 v[1:2], v[1:2], off offset:8
	s_waitcnt vmcnt(0)
	v_subrev_co_u32_e32 v1, vcc, s28, v1
	v_subbrev_co_u32_e32 v2, vcc, 0, v2, vcc
.LBB36_4:
	s_or_b64 exec, exec, s[14:15]
	v_cmp_lt_i64_e64 s[0:1], s[10:11], 1
	v_and_b32_e32 v19, 63, v0
	s_and_b64 vcc, exec, s[0:1]
	v_cmp_eq_u32_e64 s[0:1], 0, v19
	s_cbranch_vccnz .LBB36_22
; %bb.5:
	s_load_dwordx2 s[14:15], s[4:5], 0x38
	v_mbcnt_lo_u32_b32 v4, -1, 0
	v_mbcnt_hi_u32_b32 v4, -1, v4
	v_lshlrev_b32_e32 v4, 2, v4
	v_mov_b32_e32 v7, 0
	v_and_b32_e32 v0, 7, v0
	v_mov_b32_e32 v3, 0
	v_or_b32_e32 v20, 28, v4
	v_or_b32_e32 v21, 0xfc, v4
	s_mov_b64 s[16:17], 0
	v_mov_b32_e32 v8, 0
	v_mov_b32_e32 v22, 1
	s_ashr_i32 s18, s13, 31
	s_branch .LBB36_7
.LBB36_6:                               ;   in Loop: Header=BB36_7 Depth=1
	s_or_b64 exec, exec, s[2:3]
	v_mov_b32_dpp v7, v5 row_shr:1 row_mask:0xf bank_mask:0xf
	v_mov_b32_dpp v8, v6 row_shr:1 row_mask:0xf bank_mask:0xf
	v_cmp_lt_i64_e32 vcc, v[7:8], v[5:6]
	s_waitcnt lgkmcnt(0)
	v_cndmask_b32_e32 v6, v6, v8, vcc
	v_cndmask_b32_e32 v5, v5, v7, vcc
	s_nop 0
	v_mov_b32_dpp v8, v6 row_shr:2 row_mask:0xf bank_mask:0xf
	v_mov_b32_dpp v7, v5 row_shr:2 row_mask:0xf bank_mask:0xf
	v_cmp_lt_i64_e32 vcc, v[7:8], v[5:6]
	v_cndmask_b32_e32 v6, v6, v8, vcc
	v_cndmask_b32_e32 v5, v5, v7, vcc
	s_nop 0
	v_mov_b32_dpp v8, v6 row_shr:4 row_mask:0xf bank_mask:0xe
	v_mov_b32_dpp v7, v5 row_shr:4 row_mask:0xf bank_mask:0xe
	v_cmp_lt_i64_e32 vcc, v[7:8], v[5:6]
	;; [unrolled: 6-line block ×3, first 2 shown]
	v_cndmask_b32_e32 v6, v6, v8, vcc
	v_cndmask_b32_e32 v5, v5, v7, vcc
	s_nop 0
	v_mov_b32_dpp v8, v6 row_bcast:15 row_mask:0xa bank_mask:0xf
	v_mov_b32_dpp v7, v5 row_bcast:15 row_mask:0xa bank_mask:0xf
	v_cmp_lt_i64_e32 vcc, v[7:8], v[5:6]
	v_cndmask_b32_e32 v6, v6, v8, vcc
	v_cndmask_b32_e32 v5, v5, v7, vcc
	s_nop 0
	v_mov_b32_dpp v8, v6 row_bcast:31 row_mask:0xc bank_mask:0xf
	v_mov_b32_dpp v7, v5 row_bcast:31 row_mask:0xc bank_mask:0xf
	v_cmp_lt_i64_e32 vcc, v[7:8], v[5:6]
	v_cndmask_b32_e32 v4, v6, v8, vcc
	v_cndmask_b32_e32 v5, v5, v7, vcc
	ds_bpermute_b32 v7, v21, v5
	ds_bpermute_b32 v8, v21, v4
	s_waitcnt lgkmcnt(0)
	v_cmp_le_i64_e32 vcc, s[10:11], v[7:8]
	s_or_b64 s[16:17], vcc, s[16:17]
	s_andn2_b64 exec, exec, s[16:17]
	s_cbranch_execz .LBB36_21
.LBB36_7:                               ; =>This Loop Header: Depth=1
                                        ;     Child Loop BB36_10 Depth 2
	v_add_co_u32_e32 v9, vcc, v9, v0
	v_addc_co_u32_e32 v10, vcc, 0, v10, vcc
	v_cmp_lt_i64_e32 vcc, v[9:10], v[1:2]
	v_mov_b32_e32 v5, s10
	v_mov_b32_e32 v16, v2
	;; [unrolled: 1-line block ×4, first 2 shown]
	ds_write_b8 v18, v3 offset:32
	s_waitcnt lgkmcnt(0)
	s_and_saveexec_b64 s[20:21], vcc
	s_cbranch_execz .LBB36_19
; %bb.8:                                ;   in Loop: Header=BB36_7 Depth=1
	v_lshlrev_b64 v[4:5], 3, v[9:10]
	v_mov_b32_e32 v6, s15
	v_add_co_u32_e32 v11, vcc, s14, v4
	v_addc_co_u32_e32 v12, vcc, v6, v5, vcc
	v_mov_b32_e32 v5, s10
	v_mov_b32_e32 v14, v2
	s_mov_b64 s[22:23], 0
	v_mov_b32_e32 v6, s11
	v_mov_b32_e32 v13, v1
	s_branch .LBB36_10
.LBB36_9:                               ;   in Loop: Header=BB36_10 Depth=2
	s_or_b64 exec, exec, s[2:3]
	v_add_co_u32_e64 v9, s[2:3], 8, v9
	v_addc_co_u32_e64 v10, s[2:3], 0, v10, s[2:3]
	v_cmp_ge_i64_e64 s[2:3], v[9:10], v[1:2]
	s_xor_b64 s[24:25], vcc, -1
	s_or_b64 s[2:3], s[24:25], s[2:3]
	v_add_co_u32_e32 v11, vcc, 64, v11
	s_and_b64 s[2:3], exec, s[2:3]
	v_mov_b32_e32 v13, v15
	v_addc_co_u32_e32 v12, vcc, 0, v12, vcc
	s_or_b64 s[22:23], s[2:3], s[22:23]
	v_mov_b32_e32 v14, v16
	s_andn2_b64 exec, exec, s[22:23]
	s_cbranch_execz .LBB36_18
.LBB36_10:                              ;   Parent Loop BB36_7 Depth=1
                                        ; =>  This Inner Loop Header: Depth=2
	global_load_dwordx2 v[15:16], v[11:12], off
	s_waitcnt vmcnt(0)
	v_subrev_co_u32_e32 v23, vcc, s28, v15
	v_subbrev_co_u32_e32 v24, vcc, 0, v16, vcc
	v_or_b32_e32 v4, s13, v24
	v_cmp_ne_u64_e32 vcc, 0, v[3:4]
                                        ; implicit-def: $vgpr15_vgpr16
	s_and_saveexec_b64 s[2:3], vcc
	s_xor_b64 s[24:25], exec, s[2:3]
	s_cbranch_execz .LBB36_12
; %bb.11:                               ;   in Loop: Header=BB36_10 Depth=2
	s_add_u32 s2, s12, s18
	s_mov_b32 s19, s18
	s_addc_u32 s3, s13, s18
	s_xor_b64 s[26:27], s[2:3], s[18:19]
	v_cvt_f32_u32_e32 v4, s26
	v_cvt_f32_u32_e32 v15, s27
	s_sub_u32 s7, 0, s26
	s_subb_u32 s19, 0, s27
	v_mac_f32_e32 v4, 0x4f800000, v15
	v_rcp_f32_e32 v4, v4
	v_mul_f32_e32 v4, 0x5f7ffffc, v4
	v_mul_f32_e32 v15, 0x2f800000, v4
	v_trunc_f32_e32 v15, v15
	v_mac_f32_e32 v4, 0xcf800000, v15
	v_cvt_u32_f32_e32 v15, v15
	v_cvt_u32_f32_e32 v4, v4
	v_readfirstlane_b32 s29, v15
	v_readfirstlane_b32 s2, v4
	s_mul_i32 s3, s7, s29
	s_mul_hi_u32 s31, s7, s2
	s_mul_i32 s30, s19, s2
	s_add_i32 s3, s31, s3
	s_add_i32 s3, s3, s30
	s_mul_i32 s33, s7, s2
	s_mul_i32 s31, s2, s3
	s_mul_hi_u32 s34, s2, s33
	s_mul_hi_u32 s30, s2, s3
	s_add_u32 s31, s34, s31
	s_addc_u32 s30, 0, s30
	s_mul_hi_u32 s35, s29, s33
	s_mul_i32 s33, s29, s33
	s_add_u32 s31, s31, s33
	s_mul_hi_u32 s34, s29, s3
	s_addc_u32 s30, s30, s35
	s_addc_u32 s31, s34, 0
	s_mul_i32 s3, s29, s3
	s_add_u32 s3, s30, s3
	s_addc_u32 s30, 0, s31
	s_add_u32 s31, s2, s3
	s_cselect_b64 s[2:3], -1, 0
	s_cmp_lg_u64 s[2:3], 0
	s_addc_u32 s29, s29, s30
	s_mul_i32 s2, s7, s29
	s_mul_hi_u32 s3, s7, s31
	s_add_i32 s2, s3, s2
	s_mul_i32 s19, s19, s31
	s_add_i32 s2, s2, s19
	s_mul_i32 s7, s7, s31
	s_mul_hi_u32 s19, s29, s7
	s_mul_i32 s30, s29, s7
	s_mul_i32 s34, s31, s2
	s_mul_hi_u32 s7, s31, s7
	s_mul_hi_u32 s33, s31, s2
	s_add_u32 s7, s7, s34
	s_addc_u32 s33, 0, s33
	s_add_u32 s7, s7, s30
	s_mul_hi_u32 s3, s29, s2
	s_addc_u32 s7, s33, s19
	s_addc_u32 s3, s3, 0
	s_mul_i32 s2, s29, s2
	s_add_u32 s2, s7, s2
	s_addc_u32 s7, 0, s3
	s_add_u32 s19, s31, s2
	s_cselect_b64 s[2:3], -1, 0
	v_ashrrev_i32_e32 v4, 31, v24
	s_cmp_lg_u64 s[2:3], 0
	v_add_co_u32_e32 v15, vcc, v23, v4
	s_addc_u32 s7, s29, s7
	v_xor_b32_e32 v25, v15, v4
	v_addc_co_u32_e32 v23, vcc, v24, v4, vcc
	v_mad_u64_u32 v[15:16], s[2:3], v25, s7, 0
	v_mul_hi_u32 v24, v25, s19
	v_xor_b32_e32 v26, v23, v4
	v_xor_b32_e32 v4, s18, v4
	v_add_co_u32_e32 v27, vcc, v24, v15
	v_addc_co_u32_e32 v28, vcc, 0, v16, vcc
	v_mad_u64_u32 v[15:16], s[2:3], v26, s19, 0
	v_mad_u64_u32 v[23:24], s[2:3], v26, s7, 0
	v_add_co_u32_e32 v15, vcc, v27, v15
	v_addc_co_u32_e32 v15, vcc, v28, v16, vcc
	v_addc_co_u32_e32 v16, vcc, 0, v24, vcc
	v_add_co_u32_e32 v23, vcc, v15, v23
	v_addc_co_u32_e32 v24, vcc, 0, v16, vcc
	v_mul_lo_u32 v27, s27, v23
	v_mul_lo_u32 v28, s26, v24
	v_mad_u64_u32 v[15:16], s[2:3], s26, v23, 0
	v_add3_u32 v16, v16, v28, v27
	v_sub_u32_e32 v27, v26, v16
	v_mov_b32_e32 v28, s27
	v_sub_co_u32_e32 v15, vcc, v25, v15
	v_subb_co_u32_e64 v25, s[2:3], v27, v28, vcc
	v_subrev_co_u32_e64 v27, s[2:3], s26, v15
	v_subbrev_co_u32_e64 v25, s[2:3], 0, v25, s[2:3]
	v_cmp_le_u32_e64 s[2:3], s27, v25
	v_cndmask_b32_e64 v28, 0, -1, s[2:3]
	v_cmp_le_u32_e64 s[2:3], s26, v27
	v_cndmask_b32_e64 v27, 0, -1, s[2:3]
	v_cmp_eq_u32_e64 s[2:3], s27, v25
	v_cndmask_b32_e64 v25, v28, v27, s[2:3]
	v_add_co_u32_e64 v27, s[2:3], 2, v23
	v_subb_co_u32_e32 v16, vcc, v26, v16, vcc
	v_addc_co_u32_e64 v28, s[2:3], 0, v24, s[2:3]
	v_cmp_le_u32_e32 vcc, s27, v16
	v_add_co_u32_e64 v29, s[2:3], 1, v23
	v_cndmask_b32_e64 v26, 0, -1, vcc
	v_cmp_le_u32_e32 vcc, s26, v15
	v_addc_co_u32_e64 v30, s[2:3], 0, v24, s[2:3]
	v_cndmask_b32_e64 v15, 0, -1, vcc
	v_cmp_eq_u32_e32 vcc, s27, v16
	v_cmp_ne_u32_e64 s[2:3], 0, v25
	v_cndmask_b32_e32 v15, v26, v15, vcc
	v_cndmask_b32_e64 v25, v30, v28, s[2:3]
	v_cmp_ne_u32_e32 vcc, 0, v15
	v_cndmask_b32_e64 v16, v29, v27, s[2:3]
	v_cndmask_b32_e32 v15, v24, v25, vcc
	v_cndmask_b32_e32 v16, v23, v16, vcc
	v_xor_b32_e32 v23, v15, v4
	v_xor_b32_e32 v15, v16, v4
	v_sub_co_u32_e32 v15, vcc, v15, v4
	v_subb_co_u32_e32 v16, vcc, v23, v4, vcc
                                        ; implicit-def: $vgpr23
.LBB36_12:                              ;   in Loop: Header=BB36_10 Depth=2
	s_andn2_saveexec_b64 s[24:25], s[24:25]
	s_cbranch_execz .LBB36_14
; %bb.13:                               ;   in Loop: Header=BB36_10 Depth=2
	v_cvt_f32_u32_e32 v4, s12
	s_sub_i32 s2, 0, s12
	v_rcp_iflag_f32_e32 v4, v4
	v_mul_f32_e32 v4, 0x4f7ffffe, v4
	v_cvt_u32_f32_e32 v4, v4
	v_mul_lo_u32 v15, s2, v4
	v_mul_hi_u32 v15, v4, v15
	v_add_u32_e32 v4, v4, v15
	v_mul_hi_u32 v4, v23, v4
	v_mul_lo_u32 v15, v4, s12
	v_sub_u32_e32 v15, v23, v15
	v_cmp_le_u32_e32 vcc, s12, v15
	v_subrev_u32_e32 v16, s12, v15
	v_cndmask_b32_e32 v15, v15, v16, vcc
	v_cmp_le_u32_e64 s[2:3], s12, v15
	v_add_u32_e32 v15, 1, v4
	v_cndmask_b32_e32 v4, v4, v15, vcc
	v_add_u32_e32 v15, 1, v4
	v_cndmask_b32_e64 v15, v4, v15, s[2:3]
	v_mov_b32_e32 v16, v3
.LBB36_14:                              ;   in Loop: Header=BB36_10 Depth=2
	s_or_b64 exec, exec, s[24:25]
	v_cmp_eq_u64_e32 vcc, v[15:16], v[7:8]
	v_cmp_ne_u64_e64 s[2:3], v[15:16], v[7:8]
	s_and_saveexec_b64 s[24:25], s[2:3]
	s_xor_b64 s[24:25], exec, s[24:25]
; %bb.15:                               ;   in Loop: Header=BB36_10 Depth=2
	v_cmp_lt_i64_e64 s[2:3], v[15:16], v[5:6]
                                        ; implicit-def: $vgpr13_vgpr14
	v_cndmask_b32_e64 v6, v6, v16, s[2:3]
	v_cndmask_b32_e64 v5, v5, v15, s[2:3]
; %bb.16:                               ;   in Loop: Header=BB36_10 Depth=2
	s_or_saveexec_b64 s[2:3], s[24:25]
	v_mov_b32_e32 v16, v10
	v_mov_b32_e32 v15, v9
	s_xor_b64 exec, exec, s[2:3]
	s_cbranch_execz .LBB36_9
; %bb.17:                               ;   in Loop: Header=BB36_10 Depth=2
	v_mov_b32_e32 v16, v14
	v_mov_b32_e32 v15, v13
	ds_write_b8 v18, v22 offset:32
	s_branch .LBB36_9
.LBB36_18:                              ;   in Loop: Header=BB36_7 Depth=1
	s_or_b64 exec, exec, s[22:23]
.LBB36_19:                              ;   in Loop: Header=BB36_7 Depth=1
	s_or_b64 exec, exec, s[20:21]
	v_mov_b32_dpp v7, v15 row_shr:1 row_mask:0xf bank_mask:0xf
	v_mov_b32_dpp v8, v16 row_shr:1 row_mask:0xf bank_mask:0xf
	v_cmp_lt_i64_e32 vcc, v[7:8], v[15:16]
	s_waitcnt lgkmcnt(0)
	v_cndmask_b32_e32 v8, v16, v8, vcc
	v_cndmask_b32_e32 v7, v15, v7, vcc
	s_nop 0
	v_mov_b32_dpp v10, v8 row_shr:2 row_mask:0xf bank_mask:0xf
	v_mov_b32_dpp v9, v7 row_shr:2 row_mask:0xf bank_mask:0xf
	v_cmp_lt_i64_e32 vcc, v[9:10], v[7:8]
	v_cndmask_b32_e32 v8, v8, v10, vcc
	v_cndmask_b32_e32 v7, v7, v9, vcc
	s_nop 0
	v_mov_b32_dpp v10, v8 row_shr:4 row_mask:0xf bank_mask:0xe
	v_mov_b32_dpp v9, v7 row_shr:4 row_mask:0xf bank_mask:0xe
	v_cmp_lt_i64_e32 vcc, v[9:10], v[7:8]
	v_cndmask_b32_e32 v4, v8, v10, vcc
	ds_read_u8 v8, v18 offset:32
	v_cndmask_b32_e32 v7, v7, v9, vcc
	ds_bpermute_b32 v9, v20, v7
	ds_bpermute_b32 v10, v20, v4
	s_waitcnt lgkmcnt(2)
	v_and_b32_e32 v4, 1, v8
	v_cmp_eq_u32_e32 vcc, 1, v4
	s_and_b64 s[20:21], s[0:1], vcc
	s_and_saveexec_b64 s[2:3], s[20:21]
	s_cbranch_execz .LBB36_6
; %bb.20:                               ;   in Loop: Header=BB36_7 Depth=1
	ds_read_b64 v[7:8], v17
	s_waitcnt lgkmcnt(0)
	v_add_co_u32_e32 v7, vcc, 1, v7
	v_addc_co_u32_e32 v8, vcc, 0, v8, vcc
	ds_write_b64 v17, v[7:8]
	s_branch .LBB36_6
.LBB36_21:
	s_or_b64 exec, exec, s[16:17]
.LBB36_22:
	v_cmp_eq_u32_e32 vcc, 0, v19
	s_and_saveexec_b64 s[0:1], vcc
	s_cbranch_execz .LBB36_25
; %bb.23:
	s_load_dword s2, s[4:5], 0x40
	s_load_dwordx2 s[0:1], s[4:5], 0x48
	v_mov_b32_e32 v1, 0
	s_waitcnt lgkmcnt(0)
	v_mov_b32_e32 v0, s2
	global_store_dwordx2 v1, v[0:1], s[0:1]
	v_lshl_or_b32 v0, s6, 2, v18
	v_cmp_gt_i64_e32 vcc, s[8:9], v[0:1]
	s_and_b64 exec, exec, vcc
	s_cbranch_execz .LBB36_25
; %bb.24:
	v_add_u32_e32 v0, 1, v0
	ds_read_b64 v[2:3], v17
	v_lshlrev_b64 v[0:1], 3, v[0:1]
	v_mov_b32_e32 v4, s1
	v_add_co_u32_e32 v0, vcc, s0, v0
	v_addc_co_u32_e32 v1, vcc, v4, v1, vcc
	s_waitcnt lgkmcnt(0)
	global_store_dwordx2 v[0:1], v[2:3], off
.LBB36_25:
	s_endpgm
	.section	.rodata,"a",@progbits
	.p2align	6, 0x0
	.amdhsa_kernel _ZN9rocsparseL46csr2bsr_nnz_wavefront_per_row_multipass_kernelILj256ELj64ELj8EllEEvT3_S1_S1_S1_S1_21rocsparse_index_base_PKT2_PKS1_S2_PS3_
		.amdhsa_group_segment_fixed_size 40
		.amdhsa_private_segment_fixed_size 0
		.amdhsa_kernarg_size 80
		.amdhsa_user_sgpr_count 6
		.amdhsa_user_sgpr_private_segment_buffer 1
		.amdhsa_user_sgpr_dispatch_ptr 0
		.amdhsa_user_sgpr_queue_ptr 0
		.amdhsa_user_sgpr_kernarg_segment_ptr 1
		.amdhsa_user_sgpr_dispatch_id 0
		.amdhsa_user_sgpr_flat_scratch_init 0
		.amdhsa_user_sgpr_private_segment_size 0
		.amdhsa_uses_dynamic_stack 0
		.amdhsa_system_sgpr_private_segment_wavefront_offset 0
		.amdhsa_system_sgpr_workgroup_id_x 1
		.amdhsa_system_sgpr_workgroup_id_y 0
		.amdhsa_system_sgpr_workgroup_id_z 0
		.amdhsa_system_sgpr_workgroup_info 0
		.amdhsa_system_vgpr_workitem_id 0
		.amdhsa_next_free_vgpr 31
		.amdhsa_next_free_sgpr 36
		.amdhsa_reserve_vcc 1
		.amdhsa_reserve_flat_scratch 0
		.amdhsa_float_round_mode_32 0
		.amdhsa_float_round_mode_16_64 0
		.amdhsa_float_denorm_mode_32 3
		.amdhsa_float_denorm_mode_16_64 3
		.amdhsa_dx10_clamp 1
		.amdhsa_ieee_mode 1
		.amdhsa_fp16_overflow 0
		.amdhsa_exception_fp_ieee_invalid_op 0
		.amdhsa_exception_fp_denorm_src 0
		.amdhsa_exception_fp_ieee_div_zero 0
		.amdhsa_exception_fp_ieee_overflow 0
		.amdhsa_exception_fp_ieee_underflow 0
		.amdhsa_exception_fp_ieee_inexact 0
		.amdhsa_exception_int_div_zero 0
	.end_amdhsa_kernel
	.section	.text._ZN9rocsparseL46csr2bsr_nnz_wavefront_per_row_multipass_kernelILj256ELj64ELj8EllEEvT3_S1_S1_S1_S1_21rocsparse_index_base_PKT2_PKS1_S2_PS3_,"axG",@progbits,_ZN9rocsparseL46csr2bsr_nnz_wavefront_per_row_multipass_kernelILj256ELj64ELj8EllEEvT3_S1_S1_S1_S1_21rocsparse_index_base_PKT2_PKS1_S2_PS3_,comdat
.Lfunc_end36:
	.size	_ZN9rocsparseL46csr2bsr_nnz_wavefront_per_row_multipass_kernelILj256ELj64ELj8EllEEvT3_S1_S1_S1_S1_21rocsparse_index_base_PKT2_PKS1_S2_PS3_, .Lfunc_end36-_ZN9rocsparseL46csr2bsr_nnz_wavefront_per_row_multipass_kernelILj256ELj64ELj8EllEEvT3_S1_S1_S1_S1_21rocsparse_index_base_PKT2_PKS1_S2_PS3_
                                        ; -- End function
	.set _ZN9rocsparseL46csr2bsr_nnz_wavefront_per_row_multipass_kernelILj256ELj64ELj8EllEEvT3_S1_S1_S1_S1_21rocsparse_index_base_PKT2_PKS1_S2_PS3_.num_vgpr, 31
	.set _ZN9rocsparseL46csr2bsr_nnz_wavefront_per_row_multipass_kernelILj256ELj64ELj8EllEEvT3_S1_S1_S1_S1_21rocsparse_index_base_PKT2_PKS1_S2_PS3_.num_agpr, 0
	.set _ZN9rocsparseL46csr2bsr_nnz_wavefront_per_row_multipass_kernelILj256ELj64ELj8EllEEvT3_S1_S1_S1_S1_21rocsparse_index_base_PKT2_PKS1_S2_PS3_.numbered_sgpr, 36
	.set _ZN9rocsparseL46csr2bsr_nnz_wavefront_per_row_multipass_kernelILj256ELj64ELj8EllEEvT3_S1_S1_S1_S1_21rocsparse_index_base_PKT2_PKS1_S2_PS3_.num_named_barrier, 0
	.set _ZN9rocsparseL46csr2bsr_nnz_wavefront_per_row_multipass_kernelILj256ELj64ELj8EllEEvT3_S1_S1_S1_S1_21rocsparse_index_base_PKT2_PKS1_S2_PS3_.private_seg_size, 0
	.set _ZN9rocsparseL46csr2bsr_nnz_wavefront_per_row_multipass_kernelILj256ELj64ELj8EllEEvT3_S1_S1_S1_S1_21rocsparse_index_base_PKT2_PKS1_S2_PS3_.uses_vcc, 1
	.set _ZN9rocsparseL46csr2bsr_nnz_wavefront_per_row_multipass_kernelILj256ELj64ELj8EllEEvT3_S1_S1_S1_S1_21rocsparse_index_base_PKT2_PKS1_S2_PS3_.uses_flat_scratch, 0
	.set _ZN9rocsparseL46csr2bsr_nnz_wavefront_per_row_multipass_kernelILj256ELj64ELj8EllEEvT3_S1_S1_S1_S1_21rocsparse_index_base_PKT2_PKS1_S2_PS3_.has_dyn_sized_stack, 0
	.set _ZN9rocsparseL46csr2bsr_nnz_wavefront_per_row_multipass_kernelILj256ELj64ELj8EllEEvT3_S1_S1_S1_S1_21rocsparse_index_base_PKT2_PKS1_S2_PS3_.has_recursion, 0
	.set _ZN9rocsparseL46csr2bsr_nnz_wavefront_per_row_multipass_kernelILj256ELj64ELj8EllEEvT3_S1_S1_S1_S1_21rocsparse_index_base_PKT2_PKS1_S2_PS3_.has_indirect_call, 0
	.section	.AMDGPU.csdata,"",@progbits
; Kernel info:
; codeLenInByte = 1908
; TotalNumSgprs: 40
; NumVgprs: 31
; ScratchSize: 0
; MemoryBound: 0
; FloatMode: 240
; IeeeMode: 1
; LDSByteSize: 40 bytes/workgroup (compile time only)
; SGPRBlocks: 4
; VGPRBlocks: 7
; NumSGPRsForWavesPerEU: 40
; NumVGPRsForWavesPerEU: 31
; Occupancy: 8
; WaveLimiterHint : 0
; COMPUTE_PGM_RSRC2:SCRATCH_EN: 0
; COMPUTE_PGM_RSRC2:USER_SGPR: 6
; COMPUTE_PGM_RSRC2:TRAP_HANDLER: 0
; COMPUTE_PGM_RSRC2:TGID_X_EN: 1
; COMPUTE_PGM_RSRC2:TGID_Y_EN: 0
; COMPUTE_PGM_RSRC2:TGID_Z_EN: 0
; COMPUTE_PGM_RSRC2:TIDIG_COMP_CNT: 0
	.section	.text._ZN9rocsparseL46csr2bsr_nnz_wavefront_per_row_multipass_kernelILj256ELj32ELj8EllEEvT3_S1_S1_S1_S1_21rocsparse_index_base_PKT2_PKS1_S2_PS3_,"axG",@progbits,_ZN9rocsparseL46csr2bsr_nnz_wavefront_per_row_multipass_kernelILj256ELj32ELj8EllEEvT3_S1_S1_S1_S1_21rocsparse_index_base_PKT2_PKS1_S2_PS3_,comdat
	.globl	_ZN9rocsparseL46csr2bsr_nnz_wavefront_per_row_multipass_kernelILj256ELj32ELj8EllEEvT3_S1_S1_S1_S1_21rocsparse_index_base_PKT2_PKS1_S2_PS3_ ; -- Begin function _ZN9rocsparseL46csr2bsr_nnz_wavefront_per_row_multipass_kernelILj256ELj32ELj8EllEEvT3_S1_S1_S1_S1_21rocsparse_index_base_PKT2_PKS1_S2_PS3_
	.p2align	8
	.type	_ZN9rocsparseL46csr2bsr_nnz_wavefront_per_row_multipass_kernelILj256ELj32ELj8EllEEvT3_S1_S1_S1_S1_21rocsparse_index_base_PKT2_PKS1_S2_PS3_,@function
_ZN9rocsparseL46csr2bsr_nnz_wavefront_per_row_multipass_kernelILj256ELj32ELj8EllEEvT3_S1_S1_S1_S1_21rocsparse_index_base_PKT2_PKS1_S2_PS3_: ; @_ZN9rocsparseL46csr2bsr_nnz_wavefront_per_row_multipass_kernelILj256ELj32ELj8EllEEvT3_S1_S1_S1_S1_21rocsparse_index_base_PKT2_PKS1_S2_PS3_
; %bb.0:
	s_load_dwordx2 s[12:13], s[4:5], 0x20
	s_load_dword s28, s[4:5], 0x28
	s_load_dwordx2 s[2:3], s[4:5], 0x30
	s_ashr_i32 s7, s6, 31
	v_lshrrev_b32_e32 v18, 5, v0
	s_lshl_b64 s[0:1], s[6:7], 3
	v_bfe_u32 v1, v0, 2, 3
	v_mov_b32_e32 v2, 0
	v_or_b32_e32 v3, s0, v18
	s_waitcnt lgkmcnt(0)
	v_mul_lo_u32 v5, v3, s13
	v_mad_u64_u32 v[3:4], s[8:9], v3, s12, v[1:2]
	s_load_dwordx2 s[14:15], s[4:5], 0x0
	s_load_dwordx4 s[8:11], s[4:5], 0x10
	s_mul_i32 s0, s1, s12
	v_add3_u32 v4, s0, v4, v5
	v_cmp_gt_i64_e64 s[0:1], s[12:13], v[1:2]
	s_waitcnt lgkmcnt(0)
	v_cmp_gt_i64_e32 vcc, s[14:15], v[3:4]
	v_mov_b32_e32 v5, v2
	v_mov_b32_e32 v6, v2
	;; [unrolled: 1-line block ×4, first 2 shown]
	v_lshlrev_b32_e32 v17, 3, v18
	v_mov_b32_e32 v2, 0
	v_mov_b32_e32 v10, 0
	s_and_b64 s[0:1], s[0:1], vcc
	ds_write_b64 v17, v[5:6]
	s_waitcnt lgkmcnt(0)
	s_barrier
	s_and_saveexec_b64 s[14:15], s[0:1]
	s_cbranch_execz .LBB37_2
; %bb.1:
	v_lshlrev_b64 v[5:6], 3, v[3:4]
	v_mov_b32_e32 v7, s3
	v_add_co_u32_e32 v5, vcc, s2, v5
	v_addc_co_u32_e32 v6, vcc, v7, v6, vcc
	global_load_dwordx2 v[5:6], v[5:6], off
	s_waitcnt vmcnt(0)
	v_subrev_co_u32_e32 v9, vcc, s28, v5
	v_subbrev_co_u32_e32 v10, vcc, 0, v6, vcc
.LBB37_2:
	s_or_b64 exec, exec, s[14:15]
	s_and_saveexec_b64 s[14:15], s[0:1]
	s_cbranch_execz .LBB37_4
; %bb.3:
	v_lshlrev_b64 v[1:2], 3, v[3:4]
	v_mov_b32_e32 v3, s3
	v_add_co_u32_e32 v1, vcc, s2, v1
	v_addc_co_u32_e32 v2, vcc, v3, v2, vcc
	global_load_dwordx2 v[1:2], v[1:2], off offset:8
	s_waitcnt vmcnt(0)
	v_subrev_co_u32_e32 v1, vcc, s28, v1
	v_subbrev_co_u32_e32 v2, vcc, 0, v2, vcc
.LBB37_4:
	s_or_b64 exec, exec, s[14:15]
	v_cmp_lt_i64_e64 s[0:1], s[10:11], 1
	v_and_b32_e32 v19, 31, v0
	s_and_b64 vcc, exec, s[0:1]
	v_cmp_eq_u32_e64 s[0:1], 0, v19
	s_cbranch_vccnz .LBB37_22
; %bb.5:
	s_load_dwordx2 s[14:15], s[4:5], 0x38
	v_mbcnt_lo_u32_b32 v4, -1, 0
	v_mbcnt_hi_u32_b32 v4, -1, v4
	v_lshlrev_b32_e32 v4, 2, v4
	v_mov_b32_e32 v7, 0
	v_and_b32_e32 v0, 3, v0
	v_mov_b32_e32 v3, 0
	v_or_b32_e32 v20, 12, v4
	v_or_b32_e32 v21, 0x7c, v4
	s_mov_b64 s[16:17], 0
	v_mov_b32_e32 v8, 0
	v_mov_b32_e32 v22, 1
	s_ashr_i32 s18, s13, 31
	s_branch .LBB37_7
.LBB37_6:                               ;   in Loop: Header=BB37_7 Depth=1
	s_or_b64 exec, exec, s[2:3]
	v_mov_b32_dpp v7, v5 row_shr:1 row_mask:0xf bank_mask:0xf
	v_mov_b32_dpp v8, v6 row_shr:1 row_mask:0xf bank_mask:0xf
	v_cmp_lt_i64_e32 vcc, v[7:8], v[5:6]
	s_waitcnt lgkmcnt(0)
	v_cndmask_b32_e32 v6, v6, v8, vcc
	v_cndmask_b32_e32 v5, v5, v7, vcc
	s_nop 0
	v_mov_b32_dpp v8, v6 row_shr:2 row_mask:0xf bank_mask:0xf
	v_mov_b32_dpp v7, v5 row_shr:2 row_mask:0xf bank_mask:0xf
	v_cmp_lt_i64_e32 vcc, v[7:8], v[5:6]
	v_cndmask_b32_e32 v6, v6, v8, vcc
	v_cndmask_b32_e32 v5, v5, v7, vcc
	s_nop 0
	v_mov_b32_dpp v8, v6 row_shr:4 row_mask:0xf bank_mask:0xe
	v_mov_b32_dpp v7, v5 row_shr:4 row_mask:0xf bank_mask:0xe
	v_cmp_lt_i64_e32 vcc, v[7:8], v[5:6]
	;; [unrolled: 6-line block ×3, first 2 shown]
	v_cndmask_b32_e32 v6, v6, v8, vcc
	v_cndmask_b32_e32 v5, v5, v7, vcc
	s_nop 0
	v_mov_b32_dpp v8, v6 row_bcast:15 row_mask:0xa bank_mask:0xf
	v_mov_b32_dpp v7, v5 row_bcast:15 row_mask:0xa bank_mask:0xf
	v_cmp_lt_i64_e32 vcc, v[7:8], v[5:6]
	v_cndmask_b32_e32 v4, v6, v8, vcc
	v_cndmask_b32_e32 v5, v5, v7, vcc
	ds_bpermute_b32 v7, v21, v5
	ds_bpermute_b32 v8, v21, v4
	s_waitcnt lgkmcnt(0)
	v_cmp_le_i64_e32 vcc, s[10:11], v[7:8]
	s_or_b64 s[16:17], vcc, s[16:17]
	s_andn2_b64 exec, exec, s[16:17]
	s_cbranch_execz .LBB37_21
.LBB37_7:                               ; =>This Loop Header: Depth=1
                                        ;     Child Loop BB37_10 Depth 2
	v_add_co_u32_e32 v9, vcc, v9, v0
	v_addc_co_u32_e32 v10, vcc, 0, v10, vcc
	v_cmp_lt_i64_e32 vcc, v[9:10], v[1:2]
	v_mov_b32_e32 v5, s10
	v_mov_b32_e32 v16, v2
	v_mov_b32_e32 v6, s11
	v_mov_b32_e32 v15, v1
	ds_write_b8 v18, v3 offset:64
	s_waitcnt lgkmcnt(0)
	s_and_saveexec_b64 s[20:21], vcc
	s_cbranch_execz .LBB37_19
; %bb.8:                                ;   in Loop: Header=BB37_7 Depth=1
	v_lshlrev_b64 v[4:5], 3, v[9:10]
	v_mov_b32_e32 v6, s15
	v_add_co_u32_e32 v11, vcc, s14, v4
	v_addc_co_u32_e32 v12, vcc, v6, v5, vcc
	v_mov_b32_e32 v5, s10
	v_mov_b32_e32 v14, v2
	s_mov_b64 s[22:23], 0
	v_mov_b32_e32 v6, s11
	v_mov_b32_e32 v13, v1
	s_branch .LBB37_10
.LBB37_9:                               ;   in Loop: Header=BB37_10 Depth=2
	s_or_b64 exec, exec, s[2:3]
	v_add_co_u32_e64 v9, s[2:3], 4, v9
	v_addc_co_u32_e64 v10, s[2:3], 0, v10, s[2:3]
	v_cmp_ge_i64_e64 s[2:3], v[9:10], v[1:2]
	s_xor_b64 s[24:25], vcc, -1
	s_or_b64 s[2:3], s[24:25], s[2:3]
	v_add_co_u32_e32 v11, vcc, 32, v11
	s_and_b64 s[2:3], exec, s[2:3]
	v_mov_b32_e32 v13, v15
	v_addc_co_u32_e32 v12, vcc, 0, v12, vcc
	s_or_b64 s[22:23], s[2:3], s[22:23]
	v_mov_b32_e32 v14, v16
	s_andn2_b64 exec, exec, s[22:23]
	s_cbranch_execz .LBB37_18
.LBB37_10:                              ;   Parent Loop BB37_7 Depth=1
                                        ; =>  This Inner Loop Header: Depth=2
	global_load_dwordx2 v[15:16], v[11:12], off
	s_waitcnt vmcnt(0)
	v_subrev_co_u32_e32 v23, vcc, s28, v15
	v_subbrev_co_u32_e32 v24, vcc, 0, v16, vcc
	v_or_b32_e32 v4, s13, v24
	v_cmp_ne_u64_e32 vcc, 0, v[3:4]
                                        ; implicit-def: $vgpr15_vgpr16
	s_and_saveexec_b64 s[2:3], vcc
	s_xor_b64 s[24:25], exec, s[2:3]
	s_cbranch_execz .LBB37_12
; %bb.11:                               ;   in Loop: Header=BB37_10 Depth=2
	s_add_u32 s2, s12, s18
	s_mov_b32 s19, s18
	s_addc_u32 s3, s13, s18
	s_xor_b64 s[26:27], s[2:3], s[18:19]
	v_cvt_f32_u32_e32 v4, s26
	v_cvt_f32_u32_e32 v15, s27
	s_sub_u32 s7, 0, s26
	s_subb_u32 s19, 0, s27
	v_mac_f32_e32 v4, 0x4f800000, v15
	v_rcp_f32_e32 v4, v4
	v_mul_f32_e32 v4, 0x5f7ffffc, v4
	v_mul_f32_e32 v15, 0x2f800000, v4
	v_trunc_f32_e32 v15, v15
	v_mac_f32_e32 v4, 0xcf800000, v15
	v_cvt_u32_f32_e32 v15, v15
	v_cvt_u32_f32_e32 v4, v4
	v_readfirstlane_b32 s29, v15
	v_readfirstlane_b32 s2, v4
	s_mul_i32 s3, s7, s29
	s_mul_hi_u32 s31, s7, s2
	s_mul_i32 s30, s19, s2
	s_add_i32 s3, s31, s3
	s_add_i32 s3, s3, s30
	s_mul_i32 s33, s7, s2
	s_mul_i32 s31, s2, s3
	s_mul_hi_u32 s34, s2, s33
	s_mul_hi_u32 s30, s2, s3
	s_add_u32 s31, s34, s31
	s_addc_u32 s30, 0, s30
	s_mul_hi_u32 s35, s29, s33
	s_mul_i32 s33, s29, s33
	s_add_u32 s31, s31, s33
	s_mul_hi_u32 s34, s29, s3
	s_addc_u32 s30, s30, s35
	s_addc_u32 s31, s34, 0
	s_mul_i32 s3, s29, s3
	s_add_u32 s3, s30, s3
	s_addc_u32 s30, 0, s31
	s_add_u32 s31, s2, s3
	s_cselect_b64 s[2:3], -1, 0
	s_cmp_lg_u64 s[2:3], 0
	s_addc_u32 s29, s29, s30
	s_mul_i32 s2, s7, s29
	s_mul_hi_u32 s3, s7, s31
	s_add_i32 s2, s3, s2
	s_mul_i32 s19, s19, s31
	s_add_i32 s2, s2, s19
	s_mul_i32 s7, s7, s31
	s_mul_hi_u32 s19, s29, s7
	s_mul_i32 s30, s29, s7
	s_mul_i32 s34, s31, s2
	s_mul_hi_u32 s7, s31, s7
	s_mul_hi_u32 s33, s31, s2
	s_add_u32 s7, s7, s34
	s_addc_u32 s33, 0, s33
	s_add_u32 s7, s7, s30
	s_mul_hi_u32 s3, s29, s2
	s_addc_u32 s7, s33, s19
	s_addc_u32 s3, s3, 0
	s_mul_i32 s2, s29, s2
	s_add_u32 s2, s7, s2
	s_addc_u32 s7, 0, s3
	s_add_u32 s19, s31, s2
	s_cselect_b64 s[2:3], -1, 0
	v_ashrrev_i32_e32 v4, 31, v24
	s_cmp_lg_u64 s[2:3], 0
	v_add_co_u32_e32 v15, vcc, v23, v4
	s_addc_u32 s7, s29, s7
	v_xor_b32_e32 v25, v15, v4
	v_addc_co_u32_e32 v23, vcc, v24, v4, vcc
	v_mad_u64_u32 v[15:16], s[2:3], v25, s7, 0
	v_mul_hi_u32 v24, v25, s19
	v_xor_b32_e32 v26, v23, v4
	v_xor_b32_e32 v4, s18, v4
	v_add_co_u32_e32 v27, vcc, v24, v15
	v_addc_co_u32_e32 v28, vcc, 0, v16, vcc
	v_mad_u64_u32 v[15:16], s[2:3], v26, s19, 0
	v_mad_u64_u32 v[23:24], s[2:3], v26, s7, 0
	v_add_co_u32_e32 v15, vcc, v27, v15
	v_addc_co_u32_e32 v15, vcc, v28, v16, vcc
	v_addc_co_u32_e32 v16, vcc, 0, v24, vcc
	v_add_co_u32_e32 v23, vcc, v15, v23
	v_addc_co_u32_e32 v24, vcc, 0, v16, vcc
	v_mul_lo_u32 v27, s27, v23
	v_mul_lo_u32 v28, s26, v24
	v_mad_u64_u32 v[15:16], s[2:3], s26, v23, 0
	v_add3_u32 v16, v16, v28, v27
	v_sub_u32_e32 v27, v26, v16
	v_mov_b32_e32 v28, s27
	v_sub_co_u32_e32 v15, vcc, v25, v15
	v_subb_co_u32_e64 v25, s[2:3], v27, v28, vcc
	v_subrev_co_u32_e64 v27, s[2:3], s26, v15
	v_subbrev_co_u32_e64 v25, s[2:3], 0, v25, s[2:3]
	v_cmp_le_u32_e64 s[2:3], s27, v25
	v_cndmask_b32_e64 v28, 0, -1, s[2:3]
	v_cmp_le_u32_e64 s[2:3], s26, v27
	v_cndmask_b32_e64 v27, 0, -1, s[2:3]
	v_cmp_eq_u32_e64 s[2:3], s27, v25
	v_cndmask_b32_e64 v25, v28, v27, s[2:3]
	v_add_co_u32_e64 v27, s[2:3], 2, v23
	v_subb_co_u32_e32 v16, vcc, v26, v16, vcc
	v_addc_co_u32_e64 v28, s[2:3], 0, v24, s[2:3]
	v_cmp_le_u32_e32 vcc, s27, v16
	v_add_co_u32_e64 v29, s[2:3], 1, v23
	v_cndmask_b32_e64 v26, 0, -1, vcc
	v_cmp_le_u32_e32 vcc, s26, v15
	v_addc_co_u32_e64 v30, s[2:3], 0, v24, s[2:3]
	v_cndmask_b32_e64 v15, 0, -1, vcc
	v_cmp_eq_u32_e32 vcc, s27, v16
	v_cmp_ne_u32_e64 s[2:3], 0, v25
	v_cndmask_b32_e32 v15, v26, v15, vcc
	v_cndmask_b32_e64 v25, v30, v28, s[2:3]
	v_cmp_ne_u32_e32 vcc, 0, v15
	v_cndmask_b32_e64 v16, v29, v27, s[2:3]
	v_cndmask_b32_e32 v15, v24, v25, vcc
	v_cndmask_b32_e32 v16, v23, v16, vcc
	v_xor_b32_e32 v23, v15, v4
	v_xor_b32_e32 v15, v16, v4
	v_sub_co_u32_e32 v15, vcc, v15, v4
	v_subb_co_u32_e32 v16, vcc, v23, v4, vcc
                                        ; implicit-def: $vgpr23
.LBB37_12:                              ;   in Loop: Header=BB37_10 Depth=2
	s_andn2_saveexec_b64 s[24:25], s[24:25]
	s_cbranch_execz .LBB37_14
; %bb.13:                               ;   in Loop: Header=BB37_10 Depth=2
	v_cvt_f32_u32_e32 v4, s12
	s_sub_i32 s2, 0, s12
	v_rcp_iflag_f32_e32 v4, v4
	v_mul_f32_e32 v4, 0x4f7ffffe, v4
	v_cvt_u32_f32_e32 v4, v4
	v_mul_lo_u32 v15, s2, v4
	v_mul_hi_u32 v15, v4, v15
	v_add_u32_e32 v4, v4, v15
	v_mul_hi_u32 v4, v23, v4
	v_mul_lo_u32 v15, v4, s12
	v_sub_u32_e32 v15, v23, v15
	v_cmp_le_u32_e32 vcc, s12, v15
	v_subrev_u32_e32 v16, s12, v15
	v_cndmask_b32_e32 v15, v15, v16, vcc
	v_cmp_le_u32_e64 s[2:3], s12, v15
	v_add_u32_e32 v15, 1, v4
	v_cndmask_b32_e32 v4, v4, v15, vcc
	v_add_u32_e32 v15, 1, v4
	v_cndmask_b32_e64 v15, v4, v15, s[2:3]
	v_mov_b32_e32 v16, v3
.LBB37_14:                              ;   in Loop: Header=BB37_10 Depth=2
	s_or_b64 exec, exec, s[24:25]
	v_cmp_eq_u64_e32 vcc, v[15:16], v[7:8]
	v_cmp_ne_u64_e64 s[2:3], v[15:16], v[7:8]
	s_and_saveexec_b64 s[24:25], s[2:3]
	s_xor_b64 s[24:25], exec, s[24:25]
; %bb.15:                               ;   in Loop: Header=BB37_10 Depth=2
	v_cmp_lt_i64_e64 s[2:3], v[15:16], v[5:6]
                                        ; implicit-def: $vgpr13_vgpr14
	v_cndmask_b32_e64 v6, v6, v16, s[2:3]
	v_cndmask_b32_e64 v5, v5, v15, s[2:3]
; %bb.16:                               ;   in Loop: Header=BB37_10 Depth=2
	s_or_saveexec_b64 s[2:3], s[24:25]
	v_mov_b32_e32 v16, v10
	v_mov_b32_e32 v15, v9
	s_xor_b64 exec, exec, s[2:3]
	s_cbranch_execz .LBB37_9
; %bb.17:                               ;   in Loop: Header=BB37_10 Depth=2
	v_mov_b32_e32 v16, v14
	v_mov_b32_e32 v15, v13
	ds_write_b8 v18, v22 offset:64
	s_branch .LBB37_9
.LBB37_18:                              ;   in Loop: Header=BB37_7 Depth=1
	s_or_b64 exec, exec, s[22:23]
.LBB37_19:                              ;   in Loop: Header=BB37_7 Depth=1
	s_or_b64 exec, exec, s[20:21]
	v_mov_b32_dpp v7, v15 row_shr:1 row_mask:0xf bank_mask:0xf
	v_mov_b32_dpp v8, v16 row_shr:1 row_mask:0xf bank_mask:0xf
	v_cmp_lt_i64_e32 vcc, v[7:8], v[15:16]
	s_waitcnt lgkmcnt(0)
	v_cndmask_b32_e32 v8, v16, v8, vcc
	v_cndmask_b32_e32 v7, v15, v7, vcc
	s_nop 0
	v_mov_b32_dpp v10, v8 row_shr:2 row_mask:0xf bank_mask:0xf
	v_mov_b32_dpp v9, v7 row_shr:2 row_mask:0xf bank_mask:0xf
	v_cmp_lt_i64_e32 vcc, v[9:10], v[7:8]
	v_cndmask_b32_e32 v4, v8, v10, vcc
	ds_read_u8 v8, v18 offset:64
	v_cndmask_b32_e32 v7, v7, v9, vcc
	ds_bpermute_b32 v9, v20, v7
	ds_bpermute_b32 v10, v20, v4
	s_waitcnt lgkmcnt(2)
	v_and_b32_e32 v4, 1, v8
	v_cmp_eq_u32_e32 vcc, 1, v4
	s_and_b64 s[20:21], s[0:1], vcc
	s_and_saveexec_b64 s[2:3], s[20:21]
	s_cbranch_execz .LBB37_6
; %bb.20:                               ;   in Loop: Header=BB37_7 Depth=1
	ds_read_b64 v[7:8], v17
	s_waitcnt lgkmcnt(0)
	v_add_co_u32_e32 v7, vcc, 1, v7
	v_addc_co_u32_e32 v8, vcc, 0, v8, vcc
	ds_write_b64 v17, v[7:8]
	s_branch .LBB37_6
.LBB37_21:
	s_or_b64 exec, exec, s[16:17]
.LBB37_22:
	v_cmp_eq_u32_e32 vcc, 0, v19
	s_and_saveexec_b64 s[0:1], vcc
	s_cbranch_execz .LBB37_25
; %bb.23:
	s_load_dword s2, s[4:5], 0x40
	s_load_dwordx2 s[0:1], s[4:5], 0x48
	v_mov_b32_e32 v1, 0
	s_waitcnt lgkmcnt(0)
	v_mov_b32_e32 v0, s2
	global_store_dwordx2 v1, v[0:1], s[0:1]
	v_lshl_or_b32 v0, s6, 3, v18
	v_cmp_gt_i64_e32 vcc, s[8:9], v[0:1]
	s_and_b64 exec, exec, vcc
	s_cbranch_execz .LBB37_25
; %bb.24:
	v_add_u32_e32 v0, 1, v0
	ds_read_b64 v[2:3], v17
	v_lshlrev_b64 v[0:1], 3, v[0:1]
	v_mov_b32_e32 v4, s1
	v_add_co_u32_e32 v0, vcc, s0, v0
	v_addc_co_u32_e32 v1, vcc, v4, v1, vcc
	s_waitcnt lgkmcnt(0)
	global_store_dwordx2 v[0:1], v[2:3], off
.LBB37_25:
	s_endpgm
	.section	.rodata,"a",@progbits
	.p2align	6, 0x0
	.amdhsa_kernel _ZN9rocsparseL46csr2bsr_nnz_wavefront_per_row_multipass_kernelILj256ELj32ELj8EllEEvT3_S1_S1_S1_S1_21rocsparse_index_base_PKT2_PKS1_S2_PS3_
		.amdhsa_group_segment_fixed_size 72
		.amdhsa_private_segment_fixed_size 0
		.amdhsa_kernarg_size 80
		.amdhsa_user_sgpr_count 6
		.amdhsa_user_sgpr_private_segment_buffer 1
		.amdhsa_user_sgpr_dispatch_ptr 0
		.amdhsa_user_sgpr_queue_ptr 0
		.amdhsa_user_sgpr_kernarg_segment_ptr 1
		.amdhsa_user_sgpr_dispatch_id 0
		.amdhsa_user_sgpr_flat_scratch_init 0
		.amdhsa_user_sgpr_private_segment_size 0
		.amdhsa_uses_dynamic_stack 0
		.amdhsa_system_sgpr_private_segment_wavefront_offset 0
		.amdhsa_system_sgpr_workgroup_id_x 1
		.amdhsa_system_sgpr_workgroup_id_y 0
		.amdhsa_system_sgpr_workgroup_id_z 0
		.amdhsa_system_sgpr_workgroup_info 0
		.amdhsa_system_vgpr_workitem_id 0
		.amdhsa_next_free_vgpr 31
		.amdhsa_next_free_sgpr 36
		.amdhsa_reserve_vcc 1
		.amdhsa_reserve_flat_scratch 0
		.amdhsa_float_round_mode_32 0
		.amdhsa_float_round_mode_16_64 0
		.amdhsa_float_denorm_mode_32 3
		.amdhsa_float_denorm_mode_16_64 3
		.amdhsa_dx10_clamp 1
		.amdhsa_ieee_mode 1
		.amdhsa_fp16_overflow 0
		.amdhsa_exception_fp_ieee_invalid_op 0
		.amdhsa_exception_fp_denorm_src 0
		.amdhsa_exception_fp_ieee_div_zero 0
		.amdhsa_exception_fp_ieee_overflow 0
		.amdhsa_exception_fp_ieee_underflow 0
		.amdhsa_exception_fp_ieee_inexact 0
		.amdhsa_exception_int_div_zero 0
	.end_amdhsa_kernel
	.section	.text._ZN9rocsparseL46csr2bsr_nnz_wavefront_per_row_multipass_kernelILj256ELj32ELj8EllEEvT3_S1_S1_S1_S1_21rocsparse_index_base_PKT2_PKS1_S2_PS3_,"axG",@progbits,_ZN9rocsparseL46csr2bsr_nnz_wavefront_per_row_multipass_kernelILj256ELj32ELj8EllEEvT3_S1_S1_S1_S1_21rocsparse_index_base_PKT2_PKS1_S2_PS3_,comdat
.Lfunc_end37:
	.size	_ZN9rocsparseL46csr2bsr_nnz_wavefront_per_row_multipass_kernelILj256ELj32ELj8EllEEvT3_S1_S1_S1_S1_21rocsparse_index_base_PKT2_PKS1_S2_PS3_, .Lfunc_end37-_ZN9rocsparseL46csr2bsr_nnz_wavefront_per_row_multipass_kernelILj256ELj32ELj8EllEEvT3_S1_S1_S1_S1_21rocsparse_index_base_PKT2_PKS1_S2_PS3_
                                        ; -- End function
	.set _ZN9rocsparseL46csr2bsr_nnz_wavefront_per_row_multipass_kernelILj256ELj32ELj8EllEEvT3_S1_S1_S1_S1_21rocsparse_index_base_PKT2_PKS1_S2_PS3_.num_vgpr, 31
	.set _ZN9rocsparseL46csr2bsr_nnz_wavefront_per_row_multipass_kernelILj256ELj32ELj8EllEEvT3_S1_S1_S1_S1_21rocsparse_index_base_PKT2_PKS1_S2_PS3_.num_agpr, 0
	.set _ZN9rocsparseL46csr2bsr_nnz_wavefront_per_row_multipass_kernelILj256ELj32ELj8EllEEvT3_S1_S1_S1_S1_21rocsparse_index_base_PKT2_PKS1_S2_PS3_.numbered_sgpr, 36
	.set _ZN9rocsparseL46csr2bsr_nnz_wavefront_per_row_multipass_kernelILj256ELj32ELj8EllEEvT3_S1_S1_S1_S1_21rocsparse_index_base_PKT2_PKS1_S2_PS3_.num_named_barrier, 0
	.set _ZN9rocsparseL46csr2bsr_nnz_wavefront_per_row_multipass_kernelILj256ELj32ELj8EllEEvT3_S1_S1_S1_S1_21rocsparse_index_base_PKT2_PKS1_S2_PS3_.private_seg_size, 0
	.set _ZN9rocsparseL46csr2bsr_nnz_wavefront_per_row_multipass_kernelILj256ELj32ELj8EllEEvT3_S1_S1_S1_S1_21rocsparse_index_base_PKT2_PKS1_S2_PS3_.uses_vcc, 1
	.set _ZN9rocsparseL46csr2bsr_nnz_wavefront_per_row_multipass_kernelILj256ELj32ELj8EllEEvT3_S1_S1_S1_S1_21rocsparse_index_base_PKT2_PKS1_S2_PS3_.uses_flat_scratch, 0
	.set _ZN9rocsparseL46csr2bsr_nnz_wavefront_per_row_multipass_kernelILj256ELj32ELj8EllEEvT3_S1_S1_S1_S1_21rocsparse_index_base_PKT2_PKS1_S2_PS3_.has_dyn_sized_stack, 0
	.set _ZN9rocsparseL46csr2bsr_nnz_wavefront_per_row_multipass_kernelILj256ELj32ELj8EllEEvT3_S1_S1_S1_S1_21rocsparse_index_base_PKT2_PKS1_S2_PS3_.has_recursion, 0
	.set _ZN9rocsparseL46csr2bsr_nnz_wavefront_per_row_multipass_kernelILj256ELj32ELj8EllEEvT3_S1_S1_S1_S1_21rocsparse_index_base_PKT2_PKS1_S2_PS3_.has_indirect_call, 0
	.section	.AMDGPU.csdata,"",@progbits
; Kernel info:
; codeLenInByte = 1844
; TotalNumSgprs: 40
; NumVgprs: 31
; ScratchSize: 0
; MemoryBound: 0
; FloatMode: 240
; IeeeMode: 1
; LDSByteSize: 72 bytes/workgroup (compile time only)
; SGPRBlocks: 4
; VGPRBlocks: 7
; NumSGPRsForWavesPerEU: 40
; NumVGPRsForWavesPerEU: 31
; Occupancy: 8
; WaveLimiterHint : 0
; COMPUTE_PGM_RSRC2:SCRATCH_EN: 0
; COMPUTE_PGM_RSRC2:USER_SGPR: 6
; COMPUTE_PGM_RSRC2:TRAP_HANDLER: 0
; COMPUTE_PGM_RSRC2:TGID_X_EN: 1
; COMPUTE_PGM_RSRC2:TGID_Y_EN: 0
; COMPUTE_PGM_RSRC2:TGID_Z_EN: 0
; COMPUTE_PGM_RSRC2:TIDIG_COMP_CNT: 0
	.section	.text._ZN9rocsparseL46csr2bsr_nnz_wavefront_per_row_multipass_kernelILj256ELj64ELj16EllEEvT3_S1_S1_S1_S1_21rocsparse_index_base_PKT2_PKS1_S2_PS3_,"axG",@progbits,_ZN9rocsparseL46csr2bsr_nnz_wavefront_per_row_multipass_kernelILj256ELj64ELj16EllEEvT3_S1_S1_S1_S1_21rocsparse_index_base_PKT2_PKS1_S2_PS3_,comdat
	.globl	_ZN9rocsparseL46csr2bsr_nnz_wavefront_per_row_multipass_kernelILj256ELj64ELj16EllEEvT3_S1_S1_S1_S1_21rocsparse_index_base_PKT2_PKS1_S2_PS3_ ; -- Begin function _ZN9rocsparseL46csr2bsr_nnz_wavefront_per_row_multipass_kernelILj256ELj64ELj16EllEEvT3_S1_S1_S1_S1_21rocsparse_index_base_PKT2_PKS1_S2_PS3_
	.p2align	8
	.type	_ZN9rocsparseL46csr2bsr_nnz_wavefront_per_row_multipass_kernelILj256ELj64ELj16EllEEvT3_S1_S1_S1_S1_21rocsparse_index_base_PKT2_PKS1_S2_PS3_,@function
_ZN9rocsparseL46csr2bsr_nnz_wavefront_per_row_multipass_kernelILj256ELj64ELj16EllEEvT3_S1_S1_S1_S1_21rocsparse_index_base_PKT2_PKS1_S2_PS3_: ; @_ZN9rocsparseL46csr2bsr_nnz_wavefront_per_row_multipass_kernelILj256ELj64ELj16EllEEvT3_S1_S1_S1_S1_21rocsparse_index_base_PKT2_PKS1_S2_PS3_
; %bb.0:
	s_load_dwordx2 s[12:13], s[4:5], 0x20
	s_load_dword s28, s[4:5], 0x28
	s_load_dwordx2 s[2:3], s[4:5], 0x30
	s_ashr_i32 s7, s6, 31
	v_lshrrev_b32_e32 v18, 6, v0
	s_lshl_b64 s[0:1], s[6:7], 2
	v_bfe_u32 v1, v0, 2, 4
	v_mov_b32_e32 v2, 0
	v_or_b32_e32 v3, s0, v18
	s_waitcnt lgkmcnt(0)
	v_mul_lo_u32 v5, v3, s13
	v_mad_u64_u32 v[3:4], s[8:9], v3, s12, v[1:2]
	s_load_dwordx2 s[14:15], s[4:5], 0x0
	s_load_dwordx4 s[8:11], s[4:5], 0x10
	s_mul_i32 s0, s1, s12
	v_add3_u32 v4, s0, v4, v5
	v_cmp_gt_i64_e64 s[0:1], s[12:13], v[1:2]
	s_waitcnt lgkmcnt(0)
	v_cmp_gt_i64_e32 vcc, s[14:15], v[3:4]
	v_mov_b32_e32 v5, v2
	v_mov_b32_e32 v6, v2
	v_mov_b32_e32 v1, 0
	v_mov_b32_e32 v9, 0
	v_lshlrev_b32_e32 v17, 3, v18
	v_mov_b32_e32 v2, 0
	v_mov_b32_e32 v10, 0
	s_and_b64 s[0:1], s[0:1], vcc
	ds_write_b64 v17, v[5:6]
	s_waitcnt lgkmcnt(0)
	s_barrier
	s_and_saveexec_b64 s[14:15], s[0:1]
	s_cbranch_execz .LBB38_2
; %bb.1:
	v_lshlrev_b64 v[5:6], 3, v[3:4]
	v_mov_b32_e32 v7, s3
	v_add_co_u32_e32 v5, vcc, s2, v5
	v_addc_co_u32_e32 v6, vcc, v7, v6, vcc
	global_load_dwordx2 v[5:6], v[5:6], off
	s_waitcnt vmcnt(0)
	v_subrev_co_u32_e32 v9, vcc, s28, v5
	v_subbrev_co_u32_e32 v10, vcc, 0, v6, vcc
.LBB38_2:
	s_or_b64 exec, exec, s[14:15]
	s_and_saveexec_b64 s[14:15], s[0:1]
	s_cbranch_execz .LBB38_4
; %bb.3:
	v_lshlrev_b64 v[1:2], 3, v[3:4]
	v_mov_b32_e32 v3, s3
	v_add_co_u32_e32 v1, vcc, s2, v1
	v_addc_co_u32_e32 v2, vcc, v3, v2, vcc
	global_load_dwordx2 v[1:2], v[1:2], off offset:8
	s_waitcnt vmcnt(0)
	v_subrev_co_u32_e32 v1, vcc, s28, v1
	v_subbrev_co_u32_e32 v2, vcc, 0, v2, vcc
.LBB38_4:
	s_or_b64 exec, exec, s[14:15]
	v_cmp_lt_i64_e64 s[0:1], s[10:11], 1
	v_and_b32_e32 v19, 63, v0
	s_and_b64 vcc, exec, s[0:1]
	v_cmp_eq_u32_e64 s[0:1], 0, v19
	s_cbranch_vccnz .LBB38_22
; %bb.5:
	s_load_dwordx2 s[14:15], s[4:5], 0x38
	v_mbcnt_lo_u32_b32 v4, -1, 0
	v_mbcnt_hi_u32_b32 v4, -1, v4
	v_lshlrev_b32_e32 v4, 2, v4
	v_mov_b32_e32 v7, 0
	v_and_b32_e32 v0, 3, v0
	v_mov_b32_e32 v3, 0
	v_or_b32_e32 v20, 12, v4
	v_or_b32_e32 v21, 0xfc, v4
	s_mov_b64 s[16:17], 0
	v_mov_b32_e32 v8, 0
	v_mov_b32_e32 v22, 1
	s_ashr_i32 s18, s13, 31
	s_branch .LBB38_7
.LBB38_6:                               ;   in Loop: Header=BB38_7 Depth=1
	s_or_b64 exec, exec, s[2:3]
	v_mov_b32_dpp v7, v5 row_shr:1 row_mask:0xf bank_mask:0xf
	v_mov_b32_dpp v8, v6 row_shr:1 row_mask:0xf bank_mask:0xf
	v_cmp_lt_i64_e32 vcc, v[7:8], v[5:6]
	s_waitcnt lgkmcnt(0)
	v_cndmask_b32_e32 v6, v6, v8, vcc
	v_cndmask_b32_e32 v5, v5, v7, vcc
	s_nop 0
	v_mov_b32_dpp v8, v6 row_shr:2 row_mask:0xf bank_mask:0xf
	v_mov_b32_dpp v7, v5 row_shr:2 row_mask:0xf bank_mask:0xf
	v_cmp_lt_i64_e32 vcc, v[7:8], v[5:6]
	v_cndmask_b32_e32 v6, v6, v8, vcc
	v_cndmask_b32_e32 v5, v5, v7, vcc
	s_nop 0
	v_mov_b32_dpp v8, v6 row_shr:4 row_mask:0xf bank_mask:0xe
	v_mov_b32_dpp v7, v5 row_shr:4 row_mask:0xf bank_mask:0xe
	v_cmp_lt_i64_e32 vcc, v[7:8], v[5:6]
	;; [unrolled: 6-line block ×3, first 2 shown]
	v_cndmask_b32_e32 v6, v6, v8, vcc
	v_cndmask_b32_e32 v5, v5, v7, vcc
	s_nop 0
	v_mov_b32_dpp v8, v6 row_bcast:15 row_mask:0xa bank_mask:0xf
	v_mov_b32_dpp v7, v5 row_bcast:15 row_mask:0xa bank_mask:0xf
	v_cmp_lt_i64_e32 vcc, v[7:8], v[5:6]
	v_cndmask_b32_e32 v6, v6, v8, vcc
	v_cndmask_b32_e32 v5, v5, v7, vcc
	s_nop 0
	v_mov_b32_dpp v8, v6 row_bcast:31 row_mask:0xc bank_mask:0xf
	v_mov_b32_dpp v7, v5 row_bcast:31 row_mask:0xc bank_mask:0xf
	v_cmp_lt_i64_e32 vcc, v[7:8], v[5:6]
	v_cndmask_b32_e32 v4, v6, v8, vcc
	v_cndmask_b32_e32 v5, v5, v7, vcc
	ds_bpermute_b32 v7, v21, v5
	ds_bpermute_b32 v8, v21, v4
	s_waitcnt lgkmcnt(0)
	v_cmp_le_i64_e32 vcc, s[10:11], v[7:8]
	s_or_b64 s[16:17], vcc, s[16:17]
	s_andn2_b64 exec, exec, s[16:17]
	s_cbranch_execz .LBB38_21
.LBB38_7:                               ; =>This Loop Header: Depth=1
                                        ;     Child Loop BB38_10 Depth 2
	v_add_co_u32_e32 v9, vcc, v9, v0
	v_addc_co_u32_e32 v10, vcc, 0, v10, vcc
	v_cmp_lt_i64_e32 vcc, v[9:10], v[1:2]
	v_mov_b32_e32 v5, s10
	v_mov_b32_e32 v16, v2
	;; [unrolled: 1-line block ×4, first 2 shown]
	ds_write_b8 v18, v3 offset:32
	s_waitcnt lgkmcnt(0)
	s_and_saveexec_b64 s[20:21], vcc
	s_cbranch_execz .LBB38_19
; %bb.8:                                ;   in Loop: Header=BB38_7 Depth=1
	v_lshlrev_b64 v[4:5], 3, v[9:10]
	v_mov_b32_e32 v6, s15
	v_add_co_u32_e32 v11, vcc, s14, v4
	v_addc_co_u32_e32 v12, vcc, v6, v5, vcc
	v_mov_b32_e32 v5, s10
	v_mov_b32_e32 v14, v2
	s_mov_b64 s[22:23], 0
	v_mov_b32_e32 v6, s11
	v_mov_b32_e32 v13, v1
	s_branch .LBB38_10
.LBB38_9:                               ;   in Loop: Header=BB38_10 Depth=2
	s_or_b64 exec, exec, s[2:3]
	v_add_co_u32_e64 v9, s[2:3], 4, v9
	v_addc_co_u32_e64 v10, s[2:3], 0, v10, s[2:3]
	v_cmp_ge_i64_e64 s[2:3], v[9:10], v[1:2]
	s_xor_b64 s[24:25], vcc, -1
	s_or_b64 s[2:3], s[24:25], s[2:3]
	v_add_co_u32_e32 v11, vcc, 32, v11
	s_and_b64 s[2:3], exec, s[2:3]
	v_mov_b32_e32 v13, v15
	v_addc_co_u32_e32 v12, vcc, 0, v12, vcc
	s_or_b64 s[22:23], s[2:3], s[22:23]
	v_mov_b32_e32 v14, v16
	s_andn2_b64 exec, exec, s[22:23]
	s_cbranch_execz .LBB38_18
.LBB38_10:                              ;   Parent Loop BB38_7 Depth=1
                                        ; =>  This Inner Loop Header: Depth=2
	global_load_dwordx2 v[15:16], v[11:12], off
	s_waitcnt vmcnt(0)
	v_subrev_co_u32_e32 v23, vcc, s28, v15
	v_subbrev_co_u32_e32 v24, vcc, 0, v16, vcc
	v_or_b32_e32 v4, s13, v24
	v_cmp_ne_u64_e32 vcc, 0, v[3:4]
                                        ; implicit-def: $vgpr15_vgpr16
	s_and_saveexec_b64 s[2:3], vcc
	s_xor_b64 s[24:25], exec, s[2:3]
	s_cbranch_execz .LBB38_12
; %bb.11:                               ;   in Loop: Header=BB38_10 Depth=2
	s_add_u32 s2, s12, s18
	s_mov_b32 s19, s18
	s_addc_u32 s3, s13, s18
	s_xor_b64 s[26:27], s[2:3], s[18:19]
	v_cvt_f32_u32_e32 v4, s26
	v_cvt_f32_u32_e32 v15, s27
	s_sub_u32 s7, 0, s26
	s_subb_u32 s19, 0, s27
	v_mac_f32_e32 v4, 0x4f800000, v15
	v_rcp_f32_e32 v4, v4
	v_mul_f32_e32 v4, 0x5f7ffffc, v4
	v_mul_f32_e32 v15, 0x2f800000, v4
	v_trunc_f32_e32 v15, v15
	v_mac_f32_e32 v4, 0xcf800000, v15
	v_cvt_u32_f32_e32 v15, v15
	v_cvt_u32_f32_e32 v4, v4
	v_readfirstlane_b32 s29, v15
	v_readfirstlane_b32 s2, v4
	s_mul_i32 s3, s7, s29
	s_mul_hi_u32 s31, s7, s2
	s_mul_i32 s30, s19, s2
	s_add_i32 s3, s31, s3
	s_add_i32 s3, s3, s30
	s_mul_i32 s33, s7, s2
	s_mul_i32 s31, s2, s3
	s_mul_hi_u32 s34, s2, s33
	s_mul_hi_u32 s30, s2, s3
	s_add_u32 s31, s34, s31
	s_addc_u32 s30, 0, s30
	s_mul_hi_u32 s35, s29, s33
	s_mul_i32 s33, s29, s33
	s_add_u32 s31, s31, s33
	s_mul_hi_u32 s34, s29, s3
	s_addc_u32 s30, s30, s35
	s_addc_u32 s31, s34, 0
	s_mul_i32 s3, s29, s3
	s_add_u32 s3, s30, s3
	s_addc_u32 s30, 0, s31
	s_add_u32 s31, s2, s3
	s_cselect_b64 s[2:3], -1, 0
	s_cmp_lg_u64 s[2:3], 0
	s_addc_u32 s29, s29, s30
	s_mul_i32 s2, s7, s29
	s_mul_hi_u32 s3, s7, s31
	s_add_i32 s2, s3, s2
	s_mul_i32 s19, s19, s31
	s_add_i32 s2, s2, s19
	s_mul_i32 s7, s7, s31
	s_mul_hi_u32 s19, s29, s7
	s_mul_i32 s30, s29, s7
	s_mul_i32 s34, s31, s2
	s_mul_hi_u32 s7, s31, s7
	s_mul_hi_u32 s33, s31, s2
	s_add_u32 s7, s7, s34
	s_addc_u32 s33, 0, s33
	s_add_u32 s7, s7, s30
	s_mul_hi_u32 s3, s29, s2
	s_addc_u32 s7, s33, s19
	s_addc_u32 s3, s3, 0
	s_mul_i32 s2, s29, s2
	s_add_u32 s2, s7, s2
	s_addc_u32 s7, 0, s3
	s_add_u32 s19, s31, s2
	s_cselect_b64 s[2:3], -1, 0
	v_ashrrev_i32_e32 v4, 31, v24
	s_cmp_lg_u64 s[2:3], 0
	v_add_co_u32_e32 v15, vcc, v23, v4
	s_addc_u32 s7, s29, s7
	v_xor_b32_e32 v25, v15, v4
	v_addc_co_u32_e32 v23, vcc, v24, v4, vcc
	v_mad_u64_u32 v[15:16], s[2:3], v25, s7, 0
	v_mul_hi_u32 v24, v25, s19
	v_xor_b32_e32 v26, v23, v4
	v_xor_b32_e32 v4, s18, v4
	v_add_co_u32_e32 v27, vcc, v24, v15
	v_addc_co_u32_e32 v28, vcc, 0, v16, vcc
	v_mad_u64_u32 v[15:16], s[2:3], v26, s19, 0
	v_mad_u64_u32 v[23:24], s[2:3], v26, s7, 0
	v_add_co_u32_e32 v15, vcc, v27, v15
	v_addc_co_u32_e32 v15, vcc, v28, v16, vcc
	v_addc_co_u32_e32 v16, vcc, 0, v24, vcc
	v_add_co_u32_e32 v23, vcc, v15, v23
	v_addc_co_u32_e32 v24, vcc, 0, v16, vcc
	v_mul_lo_u32 v27, s27, v23
	v_mul_lo_u32 v28, s26, v24
	v_mad_u64_u32 v[15:16], s[2:3], s26, v23, 0
	v_add3_u32 v16, v16, v28, v27
	v_sub_u32_e32 v27, v26, v16
	v_mov_b32_e32 v28, s27
	v_sub_co_u32_e32 v15, vcc, v25, v15
	v_subb_co_u32_e64 v25, s[2:3], v27, v28, vcc
	v_subrev_co_u32_e64 v27, s[2:3], s26, v15
	v_subbrev_co_u32_e64 v25, s[2:3], 0, v25, s[2:3]
	v_cmp_le_u32_e64 s[2:3], s27, v25
	v_cndmask_b32_e64 v28, 0, -1, s[2:3]
	v_cmp_le_u32_e64 s[2:3], s26, v27
	v_cndmask_b32_e64 v27, 0, -1, s[2:3]
	v_cmp_eq_u32_e64 s[2:3], s27, v25
	v_cndmask_b32_e64 v25, v28, v27, s[2:3]
	v_add_co_u32_e64 v27, s[2:3], 2, v23
	v_subb_co_u32_e32 v16, vcc, v26, v16, vcc
	v_addc_co_u32_e64 v28, s[2:3], 0, v24, s[2:3]
	v_cmp_le_u32_e32 vcc, s27, v16
	v_add_co_u32_e64 v29, s[2:3], 1, v23
	v_cndmask_b32_e64 v26, 0, -1, vcc
	v_cmp_le_u32_e32 vcc, s26, v15
	v_addc_co_u32_e64 v30, s[2:3], 0, v24, s[2:3]
	v_cndmask_b32_e64 v15, 0, -1, vcc
	v_cmp_eq_u32_e32 vcc, s27, v16
	v_cmp_ne_u32_e64 s[2:3], 0, v25
	v_cndmask_b32_e32 v15, v26, v15, vcc
	v_cndmask_b32_e64 v25, v30, v28, s[2:3]
	v_cmp_ne_u32_e32 vcc, 0, v15
	v_cndmask_b32_e64 v16, v29, v27, s[2:3]
	v_cndmask_b32_e32 v15, v24, v25, vcc
	v_cndmask_b32_e32 v16, v23, v16, vcc
	v_xor_b32_e32 v23, v15, v4
	v_xor_b32_e32 v15, v16, v4
	v_sub_co_u32_e32 v15, vcc, v15, v4
	v_subb_co_u32_e32 v16, vcc, v23, v4, vcc
                                        ; implicit-def: $vgpr23
.LBB38_12:                              ;   in Loop: Header=BB38_10 Depth=2
	s_andn2_saveexec_b64 s[24:25], s[24:25]
	s_cbranch_execz .LBB38_14
; %bb.13:                               ;   in Loop: Header=BB38_10 Depth=2
	v_cvt_f32_u32_e32 v4, s12
	s_sub_i32 s2, 0, s12
	v_rcp_iflag_f32_e32 v4, v4
	v_mul_f32_e32 v4, 0x4f7ffffe, v4
	v_cvt_u32_f32_e32 v4, v4
	v_mul_lo_u32 v15, s2, v4
	v_mul_hi_u32 v15, v4, v15
	v_add_u32_e32 v4, v4, v15
	v_mul_hi_u32 v4, v23, v4
	v_mul_lo_u32 v15, v4, s12
	v_sub_u32_e32 v15, v23, v15
	v_cmp_le_u32_e32 vcc, s12, v15
	v_subrev_u32_e32 v16, s12, v15
	v_cndmask_b32_e32 v15, v15, v16, vcc
	v_cmp_le_u32_e64 s[2:3], s12, v15
	v_add_u32_e32 v15, 1, v4
	v_cndmask_b32_e32 v4, v4, v15, vcc
	v_add_u32_e32 v15, 1, v4
	v_cndmask_b32_e64 v15, v4, v15, s[2:3]
	v_mov_b32_e32 v16, v3
.LBB38_14:                              ;   in Loop: Header=BB38_10 Depth=2
	s_or_b64 exec, exec, s[24:25]
	v_cmp_eq_u64_e32 vcc, v[15:16], v[7:8]
	v_cmp_ne_u64_e64 s[2:3], v[15:16], v[7:8]
	s_and_saveexec_b64 s[24:25], s[2:3]
	s_xor_b64 s[24:25], exec, s[24:25]
; %bb.15:                               ;   in Loop: Header=BB38_10 Depth=2
	v_cmp_lt_i64_e64 s[2:3], v[15:16], v[5:6]
                                        ; implicit-def: $vgpr13_vgpr14
	v_cndmask_b32_e64 v6, v6, v16, s[2:3]
	v_cndmask_b32_e64 v5, v5, v15, s[2:3]
; %bb.16:                               ;   in Loop: Header=BB38_10 Depth=2
	s_or_saveexec_b64 s[2:3], s[24:25]
	v_mov_b32_e32 v16, v10
	v_mov_b32_e32 v15, v9
	s_xor_b64 exec, exec, s[2:3]
	s_cbranch_execz .LBB38_9
; %bb.17:                               ;   in Loop: Header=BB38_10 Depth=2
	v_mov_b32_e32 v16, v14
	v_mov_b32_e32 v15, v13
	ds_write_b8 v18, v22 offset:32
	s_branch .LBB38_9
.LBB38_18:                              ;   in Loop: Header=BB38_7 Depth=1
	s_or_b64 exec, exec, s[22:23]
.LBB38_19:                              ;   in Loop: Header=BB38_7 Depth=1
	s_or_b64 exec, exec, s[20:21]
	v_mov_b32_dpp v7, v15 row_shr:1 row_mask:0xf bank_mask:0xf
	v_mov_b32_dpp v8, v16 row_shr:1 row_mask:0xf bank_mask:0xf
	v_cmp_lt_i64_e32 vcc, v[7:8], v[15:16]
	s_waitcnt lgkmcnt(0)
	v_cndmask_b32_e32 v8, v16, v8, vcc
	v_cndmask_b32_e32 v7, v15, v7, vcc
	s_nop 0
	v_mov_b32_dpp v10, v8 row_shr:2 row_mask:0xf bank_mask:0xf
	v_mov_b32_dpp v9, v7 row_shr:2 row_mask:0xf bank_mask:0xf
	v_cmp_lt_i64_e32 vcc, v[9:10], v[7:8]
	v_cndmask_b32_e32 v4, v8, v10, vcc
	ds_read_u8 v8, v18 offset:32
	v_cndmask_b32_e32 v7, v7, v9, vcc
	ds_bpermute_b32 v9, v20, v7
	ds_bpermute_b32 v10, v20, v4
	s_waitcnt lgkmcnt(2)
	v_and_b32_e32 v4, 1, v8
	v_cmp_eq_u32_e32 vcc, 1, v4
	s_and_b64 s[20:21], s[0:1], vcc
	s_and_saveexec_b64 s[2:3], s[20:21]
	s_cbranch_execz .LBB38_6
; %bb.20:                               ;   in Loop: Header=BB38_7 Depth=1
	ds_read_b64 v[7:8], v17
	s_waitcnt lgkmcnt(0)
	v_add_co_u32_e32 v7, vcc, 1, v7
	v_addc_co_u32_e32 v8, vcc, 0, v8, vcc
	ds_write_b64 v17, v[7:8]
	s_branch .LBB38_6
.LBB38_21:
	s_or_b64 exec, exec, s[16:17]
.LBB38_22:
	v_cmp_eq_u32_e32 vcc, 0, v19
	s_and_saveexec_b64 s[0:1], vcc
	s_cbranch_execz .LBB38_25
; %bb.23:
	s_load_dword s2, s[4:5], 0x40
	s_load_dwordx2 s[0:1], s[4:5], 0x48
	v_mov_b32_e32 v1, 0
	s_waitcnt lgkmcnt(0)
	v_mov_b32_e32 v0, s2
	global_store_dwordx2 v1, v[0:1], s[0:1]
	v_lshl_or_b32 v0, s6, 2, v18
	v_cmp_gt_i64_e32 vcc, s[8:9], v[0:1]
	s_and_b64 exec, exec, vcc
	s_cbranch_execz .LBB38_25
; %bb.24:
	v_add_u32_e32 v0, 1, v0
	ds_read_b64 v[2:3], v17
	v_lshlrev_b64 v[0:1], 3, v[0:1]
	v_mov_b32_e32 v4, s1
	v_add_co_u32_e32 v0, vcc, s0, v0
	v_addc_co_u32_e32 v1, vcc, v4, v1, vcc
	s_waitcnt lgkmcnt(0)
	global_store_dwordx2 v[0:1], v[2:3], off
.LBB38_25:
	s_endpgm
	.section	.rodata,"a",@progbits
	.p2align	6, 0x0
	.amdhsa_kernel _ZN9rocsparseL46csr2bsr_nnz_wavefront_per_row_multipass_kernelILj256ELj64ELj16EllEEvT3_S1_S1_S1_S1_21rocsparse_index_base_PKT2_PKS1_S2_PS3_
		.amdhsa_group_segment_fixed_size 40
		.amdhsa_private_segment_fixed_size 0
		.amdhsa_kernarg_size 80
		.amdhsa_user_sgpr_count 6
		.amdhsa_user_sgpr_private_segment_buffer 1
		.amdhsa_user_sgpr_dispatch_ptr 0
		.amdhsa_user_sgpr_queue_ptr 0
		.amdhsa_user_sgpr_kernarg_segment_ptr 1
		.amdhsa_user_sgpr_dispatch_id 0
		.amdhsa_user_sgpr_flat_scratch_init 0
		.amdhsa_user_sgpr_private_segment_size 0
		.amdhsa_uses_dynamic_stack 0
		.amdhsa_system_sgpr_private_segment_wavefront_offset 0
		.amdhsa_system_sgpr_workgroup_id_x 1
		.amdhsa_system_sgpr_workgroup_id_y 0
		.amdhsa_system_sgpr_workgroup_id_z 0
		.amdhsa_system_sgpr_workgroup_info 0
		.amdhsa_system_vgpr_workitem_id 0
		.amdhsa_next_free_vgpr 31
		.amdhsa_next_free_sgpr 36
		.amdhsa_reserve_vcc 1
		.amdhsa_reserve_flat_scratch 0
		.amdhsa_float_round_mode_32 0
		.amdhsa_float_round_mode_16_64 0
		.amdhsa_float_denorm_mode_32 3
		.amdhsa_float_denorm_mode_16_64 3
		.amdhsa_dx10_clamp 1
		.amdhsa_ieee_mode 1
		.amdhsa_fp16_overflow 0
		.amdhsa_exception_fp_ieee_invalid_op 0
		.amdhsa_exception_fp_denorm_src 0
		.amdhsa_exception_fp_ieee_div_zero 0
		.amdhsa_exception_fp_ieee_overflow 0
		.amdhsa_exception_fp_ieee_underflow 0
		.amdhsa_exception_fp_ieee_inexact 0
		.amdhsa_exception_int_div_zero 0
	.end_amdhsa_kernel
	.section	.text._ZN9rocsparseL46csr2bsr_nnz_wavefront_per_row_multipass_kernelILj256ELj64ELj16EllEEvT3_S1_S1_S1_S1_21rocsparse_index_base_PKT2_PKS1_S2_PS3_,"axG",@progbits,_ZN9rocsparseL46csr2bsr_nnz_wavefront_per_row_multipass_kernelILj256ELj64ELj16EllEEvT3_S1_S1_S1_S1_21rocsparse_index_base_PKT2_PKS1_S2_PS3_,comdat
.Lfunc_end38:
	.size	_ZN9rocsparseL46csr2bsr_nnz_wavefront_per_row_multipass_kernelILj256ELj64ELj16EllEEvT3_S1_S1_S1_S1_21rocsparse_index_base_PKT2_PKS1_S2_PS3_, .Lfunc_end38-_ZN9rocsparseL46csr2bsr_nnz_wavefront_per_row_multipass_kernelILj256ELj64ELj16EllEEvT3_S1_S1_S1_S1_21rocsparse_index_base_PKT2_PKS1_S2_PS3_
                                        ; -- End function
	.set _ZN9rocsparseL46csr2bsr_nnz_wavefront_per_row_multipass_kernelILj256ELj64ELj16EllEEvT3_S1_S1_S1_S1_21rocsparse_index_base_PKT2_PKS1_S2_PS3_.num_vgpr, 31
	.set _ZN9rocsparseL46csr2bsr_nnz_wavefront_per_row_multipass_kernelILj256ELj64ELj16EllEEvT3_S1_S1_S1_S1_21rocsparse_index_base_PKT2_PKS1_S2_PS3_.num_agpr, 0
	.set _ZN9rocsparseL46csr2bsr_nnz_wavefront_per_row_multipass_kernelILj256ELj64ELj16EllEEvT3_S1_S1_S1_S1_21rocsparse_index_base_PKT2_PKS1_S2_PS3_.numbered_sgpr, 36
	.set _ZN9rocsparseL46csr2bsr_nnz_wavefront_per_row_multipass_kernelILj256ELj64ELj16EllEEvT3_S1_S1_S1_S1_21rocsparse_index_base_PKT2_PKS1_S2_PS3_.num_named_barrier, 0
	.set _ZN9rocsparseL46csr2bsr_nnz_wavefront_per_row_multipass_kernelILj256ELj64ELj16EllEEvT3_S1_S1_S1_S1_21rocsparse_index_base_PKT2_PKS1_S2_PS3_.private_seg_size, 0
	.set _ZN9rocsparseL46csr2bsr_nnz_wavefront_per_row_multipass_kernelILj256ELj64ELj16EllEEvT3_S1_S1_S1_S1_21rocsparse_index_base_PKT2_PKS1_S2_PS3_.uses_vcc, 1
	.set _ZN9rocsparseL46csr2bsr_nnz_wavefront_per_row_multipass_kernelILj256ELj64ELj16EllEEvT3_S1_S1_S1_S1_21rocsparse_index_base_PKT2_PKS1_S2_PS3_.uses_flat_scratch, 0
	.set _ZN9rocsparseL46csr2bsr_nnz_wavefront_per_row_multipass_kernelILj256ELj64ELj16EllEEvT3_S1_S1_S1_S1_21rocsparse_index_base_PKT2_PKS1_S2_PS3_.has_dyn_sized_stack, 0
	.set _ZN9rocsparseL46csr2bsr_nnz_wavefront_per_row_multipass_kernelILj256ELj64ELj16EllEEvT3_S1_S1_S1_S1_21rocsparse_index_base_PKT2_PKS1_S2_PS3_.has_recursion, 0
	.set _ZN9rocsparseL46csr2bsr_nnz_wavefront_per_row_multipass_kernelILj256ELj64ELj16EllEEvT3_S1_S1_S1_S1_21rocsparse_index_base_PKT2_PKS1_S2_PS3_.has_indirect_call, 0
	.section	.AMDGPU.csdata,"",@progbits
; Kernel info:
; codeLenInByte = 1876
; TotalNumSgprs: 40
; NumVgprs: 31
; ScratchSize: 0
; MemoryBound: 0
; FloatMode: 240
; IeeeMode: 1
; LDSByteSize: 40 bytes/workgroup (compile time only)
; SGPRBlocks: 4
; VGPRBlocks: 7
; NumSGPRsForWavesPerEU: 40
; NumVGPRsForWavesPerEU: 31
; Occupancy: 8
; WaveLimiterHint : 0
; COMPUTE_PGM_RSRC2:SCRATCH_EN: 0
; COMPUTE_PGM_RSRC2:USER_SGPR: 6
; COMPUTE_PGM_RSRC2:TRAP_HANDLER: 0
; COMPUTE_PGM_RSRC2:TGID_X_EN: 1
; COMPUTE_PGM_RSRC2:TGID_Y_EN: 0
; COMPUTE_PGM_RSRC2:TGID_Z_EN: 0
; COMPUTE_PGM_RSRC2:TIDIG_COMP_CNT: 0
	.section	.text._ZN9rocsparseL46csr2bsr_nnz_wavefront_per_row_multipass_kernelILj256ELj32ELj16EllEEvT3_S1_S1_S1_S1_21rocsparse_index_base_PKT2_PKS1_S2_PS3_,"axG",@progbits,_ZN9rocsparseL46csr2bsr_nnz_wavefront_per_row_multipass_kernelILj256ELj32ELj16EllEEvT3_S1_S1_S1_S1_21rocsparse_index_base_PKT2_PKS1_S2_PS3_,comdat
	.globl	_ZN9rocsparseL46csr2bsr_nnz_wavefront_per_row_multipass_kernelILj256ELj32ELj16EllEEvT3_S1_S1_S1_S1_21rocsparse_index_base_PKT2_PKS1_S2_PS3_ ; -- Begin function _ZN9rocsparseL46csr2bsr_nnz_wavefront_per_row_multipass_kernelILj256ELj32ELj16EllEEvT3_S1_S1_S1_S1_21rocsparse_index_base_PKT2_PKS1_S2_PS3_
	.p2align	8
	.type	_ZN9rocsparseL46csr2bsr_nnz_wavefront_per_row_multipass_kernelILj256ELj32ELj16EllEEvT3_S1_S1_S1_S1_21rocsparse_index_base_PKT2_PKS1_S2_PS3_,@function
_ZN9rocsparseL46csr2bsr_nnz_wavefront_per_row_multipass_kernelILj256ELj32ELj16EllEEvT3_S1_S1_S1_S1_21rocsparse_index_base_PKT2_PKS1_S2_PS3_: ; @_ZN9rocsparseL46csr2bsr_nnz_wavefront_per_row_multipass_kernelILj256ELj32ELj16EllEEvT3_S1_S1_S1_S1_21rocsparse_index_base_PKT2_PKS1_S2_PS3_
; %bb.0:
	s_load_dwordx2 s[12:13], s[4:5], 0x20
	s_load_dword s28, s[4:5], 0x28
	s_load_dwordx2 s[2:3], s[4:5], 0x30
	s_ashr_i32 s7, s6, 31
	v_lshrrev_b32_e32 v18, 5, v0
	s_lshl_b64 s[0:1], s[6:7], 3
	v_bfe_u32 v1, v0, 1, 4
	v_mov_b32_e32 v2, 0
	v_or_b32_e32 v3, s0, v18
	s_waitcnt lgkmcnt(0)
	v_mul_lo_u32 v5, v3, s13
	v_mad_u64_u32 v[3:4], s[8:9], v3, s12, v[1:2]
	s_load_dwordx2 s[14:15], s[4:5], 0x0
	s_load_dwordx4 s[8:11], s[4:5], 0x10
	s_mul_i32 s0, s1, s12
	v_add3_u32 v4, s0, v4, v5
	v_cmp_gt_i64_e64 s[0:1], s[12:13], v[1:2]
	s_waitcnt lgkmcnt(0)
	v_cmp_gt_i64_e32 vcc, s[14:15], v[3:4]
	v_mov_b32_e32 v5, v2
	v_mov_b32_e32 v6, v2
	;; [unrolled: 1-line block ×4, first 2 shown]
	v_lshlrev_b32_e32 v17, 3, v18
	v_mov_b32_e32 v2, 0
	v_mov_b32_e32 v10, 0
	s_and_b64 s[0:1], s[0:1], vcc
	ds_write_b64 v17, v[5:6]
	s_waitcnt lgkmcnt(0)
	s_barrier
	s_and_saveexec_b64 s[14:15], s[0:1]
	s_cbranch_execz .LBB39_2
; %bb.1:
	v_lshlrev_b64 v[5:6], 3, v[3:4]
	v_mov_b32_e32 v7, s3
	v_add_co_u32_e32 v5, vcc, s2, v5
	v_addc_co_u32_e32 v6, vcc, v7, v6, vcc
	global_load_dwordx2 v[5:6], v[5:6], off
	s_waitcnt vmcnt(0)
	v_subrev_co_u32_e32 v9, vcc, s28, v5
	v_subbrev_co_u32_e32 v10, vcc, 0, v6, vcc
.LBB39_2:
	s_or_b64 exec, exec, s[14:15]
	s_and_saveexec_b64 s[14:15], s[0:1]
	s_cbranch_execz .LBB39_4
; %bb.3:
	v_lshlrev_b64 v[1:2], 3, v[3:4]
	v_mov_b32_e32 v3, s3
	v_add_co_u32_e32 v1, vcc, s2, v1
	v_addc_co_u32_e32 v2, vcc, v3, v2, vcc
	global_load_dwordx2 v[1:2], v[1:2], off offset:8
	s_waitcnt vmcnt(0)
	v_subrev_co_u32_e32 v1, vcc, s28, v1
	v_subbrev_co_u32_e32 v2, vcc, 0, v2, vcc
.LBB39_4:
	s_or_b64 exec, exec, s[14:15]
	v_cmp_lt_i64_e64 s[0:1], s[10:11], 1
	v_and_b32_e32 v19, 31, v0
	s_and_b64 vcc, exec, s[0:1]
	v_cmp_eq_u32_e64 s[0:1], 0, v19
	s_cbranch_vccnz .LBB39_22
; %bb.5:
	s_load_dwordx2 s[14:15], s[4:5], 0x38
	v_mbcnt_lo_u32_b32 v4, -1, 0
	v_mbcnt_hi_u32_b32 v4, -1, v4
	v_lshlrev_b32_e32 v4, 2, v4
	v_mov_b32_e32 v7, 0
	v_and_b32_e32 v0, 1, v0
	v_mov_b32_e32 v3, 0
	v_or_b32_e32 v20, 4, v4
	v_or_b32_e32 v21, 0x7c, v4
	s_mov_b64 s[16:17], 0
	v_mov_b32_e32 v8, 0
	v_mov_b32_e32 v22, 1
	s_ashr_i32 s18, s13, 31
	s_branch .LBB39_7
.LBB39_6:                               ;   in Loop: Header=BB39_7 Depth=1
	s_or_b64 exec, exec, s[2:3]
	v_mov_b32_dpp v7, v5 row_shr:1 row_mask:0xf bank_mask:0xf
	v_mov_b32_dpp v8, v6 row_shr:1 row_mask:0xf bank_mask:0xf
	v_cmp_lt_i64_e32 vcc, v[7:8], v[5:6]
	s_waitcnt lgkmcnt(0)
	v_cndmask_b32_e32 v6, v6, v8, vcc
	v_cndmask_b32_e32 v5, v5, v7, vcc
	s_nop 0
	v_mov_b32_dpp v8, v6 row_shr:2 row_mask:0xf bank_mask:0xf
	v_mov_b32_dpp v7, v5 row_shr:2 row_mask:0xf bank_mask:0xf
	v_cmp_lt_i64_e32 vcc, v[7:8], v[5:6]
	v_cndmask_b32_e32 v6, v6, v8, vcc
	v_cndmask_b32_e32 v5, v5, v7, vcc
	s_nop 0
	v_mov_b32_dpp v8, v6 row_shr:4 row_mask:0xf bank_mask:0xe
	v_mov_b32_dpp v7, v5 row_shr:4 row_mask:0xf bank_mask:0xe
	v_cmp_lt_i64_e32 vcc, v[7:8], v[5:6]
	;; [unrolled: 6-line block ×3, first 2 shown]
	v_cndmask_b32_e32 v6, v6, v8, vcc
	v_cndmask_b32_e32 v5, v5, v7, vcc
	s_nop 0
	v_mov_b32_dpp v8, v6 row_bcast:15 row_mask:0xa bank_mask:0xf
	v_mov_b32_dpp v7, v5 row_bcast:15 row_mask:0xa bank_mask:0xf
	v_cmp_lt_i64_e32 vcc, v[7:8], v[5:6]
	v_cndmask_b32_e32 v4, v6, v8, vcc
	v_cndmask_b32_e32 v5, v5, v7, vcc
	ds_bpermute_b32 v7, v21, v5
	ds_bpermute_b32 v8, v21, v4
	s_waitcnt lgkmcnt(0)
	v_cmp_le_i64_e32 vcc, s[10:11], v[7:8]
	s_or_b64 s[16:17], vcc, s[16:17]
	s_andn2_b64 exec, exec, s[16:17]
	s_cbranch_execz .LBB39_21
.LBB39_7:                               ; =>This Loop Header: Depth=1
                                        ;     Child Loop BB39_10 Depth 2
	v_add_co_u32_e32 v9, vcc, v9, v0
	v_addc_co_u32_e32 v10, vcc, 0, v10, vcc
	v_cmp_lt_i64_e32 vcc, v[9:10], v[1:2]
	v_mov_b32_e32 v5, s10
	v_mov_b32_e32 v16, v2
	;; [unrolled: 1-line block ×4, first 2 shown]
	ds_write_b8 v18, v3 offset:64
	s_waitcnt lgkmcnt(0)
	s_and_saveexec_b64 s[20:21], vcc
	s_cbranch_execz .LBB39_19
; %bb.8:                                ;   in Loop: Header=BB39_7 Depth=1
	v_lshlrev_b64 v[4:5], 3, v[9:10]
	v_mov_b32_e32 v6, s15
	v_add_co_u32_e32 v11, vcc, s14, v4
	v_addc_co_u32_e32 v12, vcc, v6, v5, vcc
	v_mov_b32_e32 v5, s10
	v_mov_b32_e32 v14, v2
	s_mov_b64 s[22:23], 0
	v_mov_b32_e32 v6, s11
	v_mov_b32_e32 v13, v1
	s_branch .LBB39_10
.LBB39_9:                               ;   in Loop: Header=BB39_10 Depth=2
	s_or_b64 exec, exec, s[2:3]
	v_add_co_u32_e64 v9, s[2:3], 2, v9
	v_addc_co_u32_e64 v10, s[2:3], 0, v10, s[2:3]
	v_cmp_ge_i64_e64 s[2:3], v[9:10], v[1:2]
	s_xor_b64 s[24:25], vcc, -1
	s_or_b64 s[2:3], s[24:25], s[2:3]
	v_add_co_u32_e32 v11, vcc, 16, v11
	s_and_b64 s[2:3], exec, s[2:3]
	v_mov_b32_e32 v13, v15
	v_addc_co_u32_e32 v12, vcc, 0, v12, vcc
	s_or_b64 s[22:23], s[2:3], s[22:23]
	v_mov_b32_e32 v14, v16
	s_andn2_b64 exec, exec, s[22:23]
	s_cbranch_execz .LBB39_18
.LBB39_10:                              ;   Parent Loop BB39_7 Depth=1
                                        ; =>  This Inner Loop Header: Depth=2
	global_load_dwordx2 v[15:16], v[11:12], off
	s_waitcnt vmcnt(0)
	v_subrev_co_u32_e32 v23, vcc, s28, v15
	v_subbrev_co_u32_e32 v24, vcc, 0, v16, vcc
	v_or_b32_e32 v4, s13, v24
	v_cmp_ne_u64_e32 vcc, 0, v[3:4]
                                        ; implicit-def: $vgpr15_vgpr16
	s_and_saveexec_b64 s[2:3], vcc
	s_xor_b64 s[24:25], exec, s[2:3]
	s_cbranch_execz .LBB39_12
; %bb.11:                               ;   in Loop: Header=BB39_10 Depth=2
	s_add_u32 s2, s12, s18
	s_mov_b32 s19, s18
	s_addc_u32 s3, s13, s18
	s_xor_b64 s[26:27], s[2:3], s[18:19]
	v_cvt_f32_u32_e32 v4, s26
	v_cvt_f32_u32_e32 v15, s27
	s_sub_u32 s7, 0, s26
	s_subb_u32 s19, 0, s27
	v_mac_f32_e32 v4, 0x4f800000, v15
	v_rcp_f32_e32 v4, v4
	v_mul_f32_e32 v4, 0x5f7ffffc, v4
	v_mul_f32_e32 v15, 0x2f800000, v4
	v_trunc_f32_e32 v15, v15
	v_mac_f32_e32 v4, 0xcf800000, v15
	v_cvt_u32_f32_e32 v15, v15
	v_cvt_u32_f32_e32 v4, v4
	v_readfirstlane_b32 s29, v15
	v_readfirstlane_b32 s2, v4
	s_mul_i32 s3, s7, s29
	s_mul_hi_u32 s31, s7, s2
	s_mul_i32 s30, s19, s2
	s_add_i32 s3, s31, s3
	s_add_i32 s3, s3, s30
	s_mul_i32 s33, s7, s2
	s_mul_i32 s31, s2, s3
	s_mul_hi_u32 s34, s2, s33
	s_mul_hi_u32 s30, s2, s3
	s_add_u32 s31, s34, s31
	s_addc_u32 s30, 0, s30
	s_mul_hi_u32 s35, s29, s33
	s_mul_i32 s33, s29, s33
	s_add_u32 s31, s31, s33
	s_mul_hi_u32 s34, s29, s3
	s_addc_u32 s30, s30, s35
	s_addc_u32 s31, s34, 0
	s_mul_i32 s3, s29, s3
	s_add_u32 s3, s30, s3
	s_addc_u32 s30, 0, s31
	s_add_u32 s31, s2, s3
	s_cselect_b64 s[2:3], -1, 0
	s_cmp_lg_u64 s[2:3], 0
	s_addc_u32 s29, s29, s30
	s_mul_i32 s2, s7, s29
	s_mul_hi_u32 s3, s7, s31
	s_add_i32 s2, s3, s2
	s_mul_i32 s19, s19, s31
	s_add_i32 s2, s2, s19
	s_mul_i32 s7, s7, s31
	s_mul_hi_u32 s19, s29, s7
	s_mul_i32 s30, s29, s7
	s_mul_i32 s34, s31, s2
	s_mul_hi_u32 s7, s31, s7
	s_mul_hi_u32 s33, s31, s2
	s_add_u32 s7, s7, s34
	s_addc_u32 s33, 0, s33
	s_add_u32 s7, s7, s30
	s_mul_hi_u32 s3, s29, s2
	s_addc_u32 s7, s33, s19
	s_addc_u32 s3, s3, 0
	s_mul_i32 s2, s29, s2
	s_add_u32 s2, s7, s2
	s_addc_u32 s7, 0, s3
	s_add_u32 s19, s31, s2
	s_cselect_b64 s[2:3], -1, 0
	v_ashrrev_i32_e32 v4, 31, v24
	s_cmp_lg_u64 s[2:3], 0
	v_add_co_u32_e32 v15, vcc, v23, v4
	s_addc_u32 s7, s29, s7
	v_xor_b32_e32 v25, v15, v4
	v_addc_co_u32_e32 v23, vcc, v24, v4, vcc
	v_mad_u64_u32 v[15:16], s[2:3], v25, s7, 0
	v_mul_hi_u32 v24, v25, s19
	v_xor_b32_e32 v26, v23, v4
	v_xor_b32_e32 v4, s18, v4
	v_add_co_u32_e32 v27, vcc, v24, v15
	v_addc_co_u32_e32 v28, vcc, 0, v16, vcc
	v_mad_u64_u32 v[15:16], s[2:3], v26, s19, 0
	v_mad_u64_u32 v[23:24], s[2:3], v26, s7, 0
	v_add_co_u32_e32 v15, vcc, v27, v15
	v_addc_co_u32_e32 v15, vcc, v28, v16, vcc
	v_addc_co_u32_e32 v16, vcc, 0, v24, vcc
	v_add_co_u32_e32 v23, vcc, v15, v23
	v_addc_co_u32_e32 v24, vcc, 0, v16, vcc
	v_mul_lo_u32 v27, s27, v23
	v_mul_lo_u32 v28, s26, v24
	v_mad_u64_u32 v[15:16], s[2:3], s26, v23, 0
	v_add3_u32 v16, v16, v28, v27
	v_sub_u32_e32 v27, v26, v16
	v_mov_b32_e32 v28, s27
	v_sub_co_u32_e32 v15, vcc, v25, v15
	v_subb_co_u32_e64 v25, s[2:3], v27, v28, vcc
	v_subrev_co_u32_e64 v27, s[2:3], s26, v15
	v_subbrev_co_u32_e64 v25, s[2:3], 0, v25, s[2:3]
	v_cmp_le_u32_e64 s[2:3], s27, v25
	v_cndmask_b32_e64 v28, 0, -1, s[2:3]
	v_cmp_le_u32_e64 s[2:3], s26, v27
	v_cndmask_b32_e64 v27, 0, -1, s[2:3]
	v_cmp_eq_u32_e64 s[2:3], s27, v25
	v_cndmask_b32_e64 v25, v28, v27, s[2:3]
	v_add_co_u32_e64 v27, s[2:3], 2, v23
	v_subb_co_u32_e32 v16, vcc, v26, v16, vcc
	v_addc_co_u32_e64 v28, s[2:3], 0, v24, s[2:3]
	v_cmp_le_u32_e32 vcc, s27, v16
	v_add_co_u32_e64 v29, s[2:3], 1, v23
	v_cndmask_b32_e64 v26, 0, -1, vcc
	v_cmp_le_u32_e32 vcc, s26, v15
	v_addc_co_u32_e64 v30, s[2:3], 0, v24, s[2:3]
	v_cndmask_b32_e64 v15, 0, -1, vcc
	v_cmp_eq_u32_e32 vcc, s27, v16
	v_cmp_ne_u32_e64 s[2:3], 0, v25
	v_cndmask_b32_e32 v15, v26, v15, vcc
	v_cndmask_b32_e64 v25, v30, v28, s[2:3]
	v_cmp_ne_u32_e32 vcc, 0, v15
	v_cndmask_b32_e64 v16, v29, v27, s[2:3]
	v_cndmask_b32_e32 v15, v24, v25, vcc
	v_cndmask_b32_e32 v16, v23, v16, vcc
	v_xor_b32_e32 v23, v15, v4
	v_xor_b32_e32 v15, v16, v4
	v_sub_co_u32_e32 v15, vcc, v15, v4
	v_subb_co_u32_e32 v16, vcc, v23, v4, vcc
                                        ; implicit-def: $vgpr23
.LBB39_12:                              ;   in Loop: Header=BB39_10 Depth=2
	s_andn2_saveexec_b64 s[24:25], s[24:25]
	s_cbranch_execz .LBB39_14
; %bb.13:                               ;   in Loop: Header=BB39_10 Depth=2
	v_cvt_f32_u32_e32 v4, s12
	s_sub_i32 s2, 0, s12
	v_rcp_iflag_f32_e32 v4, v4
	v_mul_f32_e32 v4, 0x4f7ffffe, v4
	v_cvt_u32_f32_e32 v4, v4
	v_mul_lo_u32 v15, s2, v4
	v_mul_hi_u32 v15, v4, v15
	v_add_u32_e32 v4, v4, v15
	v_mul_hi_u32 v4, v23, v4
	v_mul_lo_u32 v15, v4, s12
	v_sub_u32_e32 v15, v23, v15
	v_cmp_le_u32_e32 vcc, s12, v15
	v_subrev_u32_e32 v16, s12, v15
	v_cndmask_b32_e32 v15, v15, v16, vcc
	v_cmp_le_u32_e64 s[2:3], s12, v15
	v_add_u32_e32 v15, 1, v4
	v_cndmask_b32_e32 v4, v4, v15, vcc
	v_add_u32_e32 v15, 1, v4
	v_cndmask_b32_e64 v15, v4, v15, s[2:3]
	v_mov_b32_e32 v16, v3
.LBB39_14:                              ;   in Loop: Header=BB39_10 Depth=2
	s_or_b64 exec, exec, s[24:25]
	v_cmp_eq_u64_e32 vcc, v[15:16], v[7:8]
	v_cmp_ne_u64_e64 s[2:3], v[15:16], v[7:8]
	s_and_saveexec_b64 s[24:25], s[2:3]
	s_xor_b64 s[24:25], exec, s[24:25]
; %bb.15:                               ;   in Loop: Header=BB39_10 Depth=2
	v_cmp_lt_i64_e64 s[2:3], v[15:16], v[5:6]
                                        ; implicit-def: $vgpr13_vgpr14
	v_cndmask_b32_e64 v6, v6, v16, s[2:3]
	v_cndmask_b32_e64 v5, v5, v15, s[2:3]
; %bb.16:                               ;   in Loop: Header=BB39_10 Depth=2
	s_or_saveexec_b64 s[2:3], s[24:25]
	v_mov_b32_e32 v16, v10
	v_mov_b32_e32 v15, v9
	s_xor_b64 exec, exec, s[2:3]
	s_cbranch_execz .LBB39_9
; %bb.17:                               ;   in Loop: Header=BB39_10 Depth=2
	v_mov_b32_e32 v16, v14
	v_mov_b32_e32 v15, v13
	ds_write_b8 v18, v22 offset:64
	s_branch .LBB39_9
.LBB39_18:                              ;   in Loop: Header=BB39_7 Depth=1
	s_or_b64 exec, exec, s[22:23]
.LBB39_19:                              ;   in Loop: Header=BB39_7 Depth=1
	s_or_b64 exec, exec, s[20:21]
	v_mov_b32_dpp v7, v15 row_shr:1 row_mask:0xf bank_mask:0xf
	v_mov_b32_dpp v8, v16 row_shr:1 row_mask:0xf bank_mask:0xf
	v_cmp_lt_i64_e32 vcc, v[7:8], v[15:16]
	s_waitcnt lgkmcnt(0)
	v_cndmask_b32_e32 v4, v16, v8, vcc
	ds_read_u8 v8, v18 offset:64
	v_cndmask_b32_e32 v7, v15, v7, vcc
	ds_bpermute_b32 v9, v20, v7
	ds_bpermute_b32 v10, v20, v4
	s_waitcnt lgkmcnt(2)
	v_and_b32_e32 v4, 1, v8
	v_cmp_eq_u32_e32 vcc, 1, v4
	s_and_b64 s[20:21], s[0:1], vcc
	s_and_saveexec_b64 s[2:3], s[20:21]
	s_cbranch_execz .LBB39_6
; %bb.20:                               ;   in Loop: Header=BB39_7 Depth=1
	ds_read_b64 v[7:8], v17
	s_waitcnt lgkmcnt(0)
	v_add_co_u32_e32 v7, vcc, 1, v7
	v_addc_co_u32_e32 v8, vcc, 0, v8, vcc
	ds_write_b64 v17, v[7:8]
	s_branch .LBB39_6
.LBB39_21:
	s_or_b64 exec, exec, s[16:17]
.LBB39_22:
	v_cmp_eq_u32_e32 vcc, 0, v19
	s_and_saveexec_b64 s[0:1], vcc
	s_cbranch_execz .LBB39_25
; %bb.23:
	s_load_dword s2, s[4:5], 0x40
	s_load_dwordx2 s[0:1], s[4:5], 0x48
	v_mov_b32_e32 v1, 0
	s_waitcnt lgkmcnt(0)
	v_mov_b32_e32 v0, s2
	global_store_dwordx2 v1, v[0:1], s[0:1]
	v_lshl_or_b32 v0, s6, 3, v18
	v_cmp_gt_i64_e32 vcc, s[8:9], v[0:1]
	s_and_b64 exec, exec, vcc
	s_cbranch_execz .LBB39_25
; %bb.24:
	v_add_u32_e32 v0, 1, v0
	ds_read_b64 v[2:3], v17
	v_lshlrev_b64 v[0:1], 3, v[0:1]
	v_mov_b32_e32 v4, s1
	v_add_co_u32_e32 v0, vcc, s0, v0
	v_addc_co_u32_e32 v1, vcc, v4, v1, vcc
	s_waitcnt lgkmcnt(0)
	global_store_dwordx2 v[0:1], v[2:3], off
.LBB39_25:
	s_endpgm
	.section	.rodata,"a",@progbits
	.p2align	6, 0x0
	.amdhsa_kernel _ZN9rocsparseL46csr2bsr_nnz_wavefront_per_row_multipass_kernelILj256ELj32ELj16EllEEvT3_S1_S1_S1_S1_21rocsparse_index_base_PKT2_PKS1_S2_PS3_
		.amdhsa_group_segment_fixed_size 72
		.amdhsa_private_segment_fixed_size 0
		.amdhsa_kernarg_size 80
		.amdhsa_user_sgpr_count 6
		.amdhsa_user_sgpr_private_segment_buffer 1
		.amdhsa_user_sgpr_dispatch_ptr 0
		.amdhsa_user_sgpr_queue_ptr 0
		.amdhsa_user_sgpr_kernarg_segment_ptr 1
		.amdhsa_user_sgpr_dispatch_id 0
		.amdhsa_user_sgpr_flat_scratch_init 0
		.amdhsa_user_sgpr_private_segment_size 0
		.amdhsa_uses_dynamic_stack 0
		.amdhsa_system_sgpr_private_segment_wavefront_offset 0
		.amdhsa_system_sgpr_workgroup_id_x 1
		.amdhsa_system_sgpr_workgroup_id_y 0
		.amdhsa_system_sgpr_workgroup_id_z 0
		.amdhsa_system_sgpr_workgroup_info 0
		.amdhsa_system_vgpr_workitem_id 0
		.amdhsa_next_free_vgpr 31
		.amdhsa_next_free_sgpr 36
		.amdhsa_reserve_vcc 1
		.amdhsa_reserve_flat_scratch 0
		.amdhsa_float_round_mode_32 0
		.amdhsa_float_round_mode_16_64 0
		.amdhsa_float_denorm_mode_32 3
		.amdhsa_float_denorm_mode_16_64 3
		.amdhsa_dx10_clamp 1
		.amdhsa_ieee_mode 1
		.amdhsa_fp16_overflow 0
		.amdhsa_exception_fp_ieee_invalid_op 0
		.amdhsa_exception_fp_denorm_src 0
		.amdhsa_exception_fp_ieee_div_zero 0
		.amdhsa_exception_fp_ieee_overflow 0
		.amdhsa_exception_fp_ieee_underflow 0
		.amdhsa_exception_fp_ieee_inexact 0
		.amdhsa_exception_int_div_zero 0
	.end_amdhsa_kernel
	.section	.text._ZN9rocsparseL46csr2bsr_nnz_wavefront_per_row_multipass_kernelILj256ELj32ELj16EllEEvT3_S1_S1_S1_S1_21rocsparse_index_base_PKT2_PKS1_S2_PS3_,"axG",@progbits,_ZN9rocsparseL46csr2bsr_nnz_wavefront_per_row_multipass_kernelILj256ELj32ELj16EllEEvT3_S1_S1_S1_S1_21rocsparse_index_base_PKT2_PKS1_S2_PS3_,comdat
.Lfunc_end39:
	.size	_ZN9rocsparseL46csr2bsr_nnz_wavefront_per_row_multipass_kernelILj256ELj32ELj16EllEEvT3_S1_S1_S1_S1_21rocsparse_index_base_PKT2_PKS1_S2_PS3_, .Lfunc_end39-_ZN9rocsparseL46csr2bsr_nnz_wavefront_per_row_multipass_kernelILj256ELj32ELj16EllEEvT3_S1_S1_S1_S1_21rocsparse_index_base_PKT2_PKS1_S2_PS3_
                                        ; -- End function
	.set _ZN9rocsparseL46csr2bsr_nnz_wavefront_per_row_multipass_kernelILj256ELj32ELj16EllEEvT3_S1_S1_S1_S1_21rocsparse_index_base_PKT2_PKS1_S2_PS3_.num_vgpr, 31
	.set _ZN9rocsparseL46csr2bsr_nnz_wavefront_per_row_multipass_kernelILj256ELj32ELj16EllEEvT3_S1_S1_S1_S1_21rocsparse_index_base_PKT2_PKS1_S2_PS3_.num_agpr, 0
	.set _ZN9rocsparseL46csr2bsr_nnz_wavefront_per_row_multipass_kernelILj256ELj32ELj16EllEEvT3_S1_S1_S1_S1_21rocsparse_index_base_PKT2_PKS1_S2_PS3_.numbered_sgpr, 36
	.set _ZN9rocsparseL46csr2bsr_nnz_wavefront_per_row_multipass_kernelILj256ELj32ELj16EllEEvT3_S1_S1_S1_S1_21rocsparse_index_base_PKT2_PKS1_S2_PS3_.num_named_barrier, 0
	.set _ZN9rocsparseL46csr2bsr_nnz_wavefront_per_row_multipass_kernelILj256ELj32ELj16EllEEvT3_S1_S1_S1_S1_21rocsparse_index_base_PKT2_PKS1_S2_PS3_.private_seg_size, 0
	.set _ZN9rocsparseL46csr2bsr_nnz_wavefront_per_row_multipass_kernelILj256ELj32ELj16EllEEvT3_S1_S1_S1_S1_21rocsparse_index_base_PKT2_PKS1_S2_PS3_.uses_vcc, 1
	.set _ZN9rocsparseL46csr2bsr_nnz_wavefront_per_row_multipass_kernelILj256ELj32ELj16EllEEvT3_S1_S1_S1_S1_21rocsparse_index_base_PKT2_PKS1_S2_PS3_.uses_flat_scratch, 0
	.set _ZN9rocsparseL46csr2bsr_nnz_wavefront_per_row_multipass_kernelILj256ELj32ELj16EllEEvT3_S1_S1_S1_S1_21rocsparse_index_base_PKT2_PKS1_S2_PS3_.has_dyn_sized_stack, 0
	.set _ZN9rocsparseL46csr2bsr_nnz_wavefront_per_row_multipass_kernelILj256ELj32ELj16EllEEvT3_S1_S1_S1_S1_21rocsparse_index_base_PKT2_PKS1_S2_PS3_.has_recursion, 0
	.set _ZN9rocsparseL46csr2bsr_nnz_wavefront_per_row_multipass_kernelILj256ELj32ELj16EllEEvT3_S1_S1_S1_S1_21rocsparse_index_base_PKT2_PKS1_S2_PS3_.has_indirect_call, 0
	.section	.AMDGPU.csdata,"",@progbits
; Kernel info:
; codeLenInByte = 1812
; TotalNumSgprs: 40
; NumVgprs: 31
; ScratchSize: 0
; MemoryBound: 0
; FloatMode: 240
; IeeeMode: 1
; LDSByteSize: 72 bytes/workgroup (compile time only)
; SGPRBlocks: 4
; VGPRBlocks: 7
; NumSGPRsForWavesPerEU: 40
; NumVGPRsForWavesPerEU: 31
; Occupancy: 8
; WaveLimiterHint : 0
; COMPUTE_PGM_RSRC2:SCRATCH_EN: 0
; COMPUTE_PGM_RSRC2:USER_SGPR: 6
; COMPUTE_PGM_RSRC2:TRAP_HANDLER: 0
; COMPUTE_PGM_RSRC2:TGID_X_EN: 1
; COMPUTE_PGM_RSRC2:TGID_Y_EN: 0
; COMPUTE_PGM_RSRC2:TGID_Z_EN: 0
; COMPUTE_PGM_RSRC2:TIDIG_COMP_CNT: 0
	.section	.text._ZN9rocsparseL42csr2bsr_nnz_block_per_row_multipass_kernelILj256ELj32EllEEvT2_S1_S1_S1_S1_21rocsparse_index_base_PKT1_PKS1_S2_PS3_,"axG",@progbits,_ZN9rocsparseL42csr2bsr_nnz_block_per_row_multipass_kernelILj256ELj32EllEEvT2_S1_S1_S1_S1_21rocsparse_index_base_PKT1_PKS1_S2_PS3_,comdat
	.globl	_ZN9rocsparseL42csr2bsr_nnz_block_per_row_multipass_kernelILj256ELj32EllEEvT2_S1_S1_S1_S1_21rocsparse_index_base_PKT1_PKS1_S2_PS3_ ; -- Begin function _ZN9rocsparseL42csr2bsr_nnz_block_per_row_multipass_kernelILj256ELj32EllEEvT2_S1_S1_S1_S1_21rocsparse_index_base_PKT1_PKS1_S2_PS3_
	.p2align	8
	.type	_ZN9rocsparseL42csr2bsr_nnz_block_per_row_multipass_kernelILj256ELj32EllEEvT2_S1_S1_S1_S1_21rocsparse_index_base_PKT1_PKS1_S2_PS3_,@function
_ZN9rocsparseL42csr2bsr_nnz_block_per_row_multipass_kernelILj256ELj32EllEEvT2_S1_S1_S1_S1_21rocsparse_index_base_PKT1_PKS1_S2_PS3_: ; @_ZN9rocsparseL42csr2bsr_nnz_block_per_row_multipass_kernelILj256ELj32EllEEvT2_S1_S1_S1_S1_21rocsparse_index_base_PKT1_PKS1_S2_PS3_
; %bb.0:
	s_load_dwordx2 s[0:1], s[4:5], 0x0
	s_load_dwordx4 s[24:27], s[4:5], 0x18
	s_load_dword s33, s[4:5], 0x28
	s_load_dwordx2 s[2:3], s[4:5], 0x30
	v_lshrrev_b32_e32 v1, 3, v0
	v_mov_b32_e32 v2, 0
	v_mov_b32_e32 v3, s6
	s_waitcnt lgkmcnt(0)
	v_mad_u64_u32 v[3:4], s[8:9], s26, v3, v[1:2]
	s_ashr_i32 s7, s6, 31
	s_mul_i32 s8, s27, s6
	s_mul_i32 s9, s26, s7
	s_add_i32 s9, s9, s8
	v_add_u32_e32 v4, s9, v4
	v_mov_b32_e32 v5, v2
	v_mov_b32_e32 v6, v2
	v_cmp_gt_i64_e32 vcc, s[0:1], v[3:4]
	v_cmp_gt_i64_e64 s[0:1], s[26:27], v[1:2]
	ds_write_b64 v2, v[5:6] offset:2048
	v_mov_b32_e32 v1, 0
	v_mov_b32_e32 v9, 0
	v_mov_b32_e32 v2, 0
	v_mov_b32_e32 v10, 0
	s_and_b64 s[0:1], s[0:1], vcc
	s_waitcnt lgkmcnt(0)
	s_barrier
	s_and_saveexec_b64 s[8:9], s[0:1]
	s_cbranch_execz .LBB40_2
; %bb.1:
	v_lshlrev_b64 v[5:6], 3, v[3:4]
	v_mov_b32_e32 v7, s3
	v_add_co_u32_e32 v5, vcc, s2, v5
	v_addc_co_u32_e32 v6, vcc, v7, v6, vcc
	global_load_dwordx2 v[5:6], v[5:6], off
	s_waitcnt vmcnt(0)
	v_subrev_co_u32_e32 v9, vcc, s33, v5
	v_subbrev_co_u32_e32 v10, vcc, 0, v6, vcc
.LBB40_2:
	s_or_b64 exec, exec, s[8:9]
	s_and_saveexec_b64 s[8:9], s[0:1]
	s_cbranch_execz .LBB40_4
; %bb.3:
	v_lshlrev_b64 v[1:2], 3, v[3:4]
	v_mov_b32_e32 v3, s3
	v_add_co_u32_e32 v1, vcc, s2, v1
	v_addc_co_u32_e32 v2, vcc, v3, v2, vcc
	global_load_dwordx2 v[1:2], v[1:2], off offset:8
	s_waitcnt vmcnt(0)
	v_subrev_co_u32_e32 v1, vcc, s33, v1
	v_subbrev_co_u32_e32 v2, vcc, 0, v2, vcc
.LBB40_4:
	s_or_b64 exec, exec, s[8:9]
	v_cmp_lt_i64_e64 s[0:1], s[24:25], 1
	s_and_b64 vcc, exec, s[0:1]
	v_cmp_eq_u32_e64 s[0:1], 0, v0
	s_cbranch_vccnz .LBB40_37
; %bb.5:
	s_load_dwordx2 s[22:23], s[4:5], 0x38
	v_mbcnt_lo_u32_b32 v4, -1, 0
	v_mbcnt_hi_u32_b32 v4, -1, v4
	s_movk_i32 s2, 0x80
	v_mov_b32_e32 v7, 0
	v_mov_b32_e32 v3, 0
	v_lshl_or_b32 v17, v4, 2, 28
	v_lshlrev_b32_e32 v18, 3, v0
	v_cmp_gt_u32_e64 s[2:3], s2, v0
	v_cmp_gt_u32_e64 s[8:9], 64, v0
	;; [unrolled: 1-line block ×7, first 2 shown]
	v_mov_b32_e32 v8, 0
	v_mov_b32_e32 v19, 1
	s_ashr_i32 s28, s27, 31
	s_sub_i32 s40, 0, s26
	s_branch .LBB40_7
.LBB40_6:                               ;   in Loop: Header=BB40_7 Depth=1
	s_or_b64 exec, exec, s[20:21]
	s_waitcnt lgkmcnt(0)
	s_barrier
	ds_read_b64 v[7:8], v3
	s_waitcnt lgkmcnt(0)
	s_barrier
	v_cmp_gt_i64_e32 vcc, s[24:25], v[7:8]
	s_cbranch_vccz .LBB40_37
.LBB40_7:                               ; =>This Loop Header: Depth=1
                                        ;     Child Loop BB40_10 Depth 2
	v_and_b32_e32 v4, 7, v0
	v_add_co_u32_e32 v9, vcc, v9, v4
	v_addc_co_u32_e32 v10, vcc, 0, v10, vcc
	v_cmp_lt_i64_e32 vcc, v[9:10], v[1:2]
	v_mov_b32_e32 v5, s24
	v_mov_b32_e32 v16, v2
	;; [unrolled: 1-line block ×4, first 2 shown]
	ds_write_b8 v3, v3 offset:2056
	s_waitcnt lgkmcnt(0)
	s_barrier
	s_and_saveexec_b64 s[30:31], vcc
	s_cbranch_execz .LBB40_19
; %bb.8:                                ;   in Loop: Header=BB40_7 Depth=1
	v_lshlrev_b64 v[4:5], 3, v[9:10]
	v_mov_b32_e32 v6, s23
	v_add_co_u32_e32 v11, vcc, s22, v4
	v_addc_co_u32_e32 v12, vcc, v6, v5, vcc
	v_mov_b32_e32 v5, s24
	v_mov_b32_e32 v14, v2
	s_mov_b64 s[34:35], 0
	v_mov_b32_e32 v6, s25
	v_mov_b32_e32 v13, v1
	s_branch .LBB40_10
.LBB40_9:                               ;   in Loop: Header=BB40_10 Depth=2
	s_or_b64 exec, exec, s[20:21]
	v_add_co_u32_e64 v9, s[20:21], 8, v9
	v_addc_co_u32_e64 v10, s[20:21], 0, v10, s[20:21]
	v_cmp_ge_i64_e64 s[20:21], v[9:10], v[1:2]
	s_xor_b64 s[36:37], vcc, -1
	s_or_b64 s[20:21], s[36:37], s[20:21]
	v_add_co_u32_e32 v11, vcc, 64, v11
	s_and_b64 s[20:21], exec, s[20:21]
	v_mov_b32_e32 v13, v15
	v_addc_co_u32_e32 v12, vcc, 0, v12, vcc
	s_or_b64 s[34:35], s[20:21], s[34:35]
	v_mov_b32_e32 v14, v16
	s_andn2_b64 exec, exec, s[34:35]
	s_cbranch_execz .LBB40_18
.LBB40_10:                              ;   Parent Loop BB40_7 Depth=1
                                        ; =>  This Inner Loop Header: Depth=2
	global_load_dwordx2 v[15:16], v[11:12], off
	s_waitcnt vmcnt(0)
	v_subrev_co_u32_e32 v20, vcc, s33, v15
	v_subbrev_co_u32_e32 v21, vcc, 0, v16, vcc
	v_or_b32_e32 v4, s27, v21
	v_cmp_ne_u64_e32 vcc, 0, v[3:4]
                                        ; implicit-def: $vgpr15_vgpr16
	s_and_saveexec_b64 s[20:21], vcc
	s_xor_b64 s[36:37], exec, s[20:21]
	s_cbranch_execz .LBB40_12
; %bb.11:                               ;   in Loop: Header=BB40_10 Depth=2
	s_add_u32 s20, s26, s28
	s_mov_b32 s29, s28
	s_addc_u32 s21, s27, s28
	s_xor_b64 s[38:39], s[20:21], s[28:29]
	v_cvt_f32_u32_e32 v4, s38
	v_cvt_f32_u32_e32 v15, s39
	s_sub_u32 s29, 0, s38
	s_subb_u32 s41, 0, s39
	v_mac_f32_e32 v4, 0x4f800000, v15
	v_rcp_f32_e32 v4, v4
	v_mul_f32_e32 v4, 0x5f7ffffc, v4
	v_mul_f32_e32 v15, 0x2f800000, v4
	v_trunc_f32_e32 v15, v15
	v_mac_f32_e32 v4, 0xcf800000, v15
	v_cvt_u32_f32_e32 v15, v15
	v_cvt_u32_f32_e32 v4, v4
	v_readfirstlane_b32 s42, v15
	v_readfirstlane_b32 s20, v4
	s_mul_i32 s21, s29, s42
	s_mul_hi_u32 s44, s29, s20
	s_mul_i32 s43, s41, s20
	s_add_i32 s21, s44, s21
	s_add_i32 s21, s21, s43
	s_mul_i32 s45, s29, s20
	s_mul_i32 s44, s20, s21
	s_mul_hi_u32 s46, s20, s45
	s_mul_hi_u32 s43, s20, s21
	s_add_u32 s44, s46, s44
	s_addc_u32 s43, 0, s43
	s_mul_hi_u32 s47, s42, s45
	s_mul_i32 s45, s42, s45
	s_add_u32 s44, s44, s45
	s_mul_hi_u32 s46, s42, s21
	s_addc_u32 s43, s43, s47
	s_addc_u32 s44, s46, 0
	s_mul_i32 s21, s42, s21
	s_add_u32 s21, s43, s21
	s_addc_u32 s43, 0, s44
	s_add_u32 s44, s20, s21
	s_cselect_b64 s[20:21], -1, 0
	s_cmp_lg_u64 s[20:21], 0
	s_addc_u32 s42, s42, s43
	s_mul_i32 s20, s29, s42
	s_mul_hi_u32 s21, s29, s44
	s_add_i32 s20, s21, s20
	s_mul_i32 s41, s41, s44
	s_add_i32 s20, s20, s41
	s_mul_i32 s29, s29, s44
	s_mul_hi_u32 s41, s42, s29
	s_mul_i32 s43, s42, s29
	s_mul_i32 s46, s44, s20
	s_mul_hi_u32 s29, s44, s29
	s_mul_hi_u32 s45, s44, s20
	s_add_u32 s29, s29, s46
	s_addc_u32 s45, 0, s45
	s_add_u32 s29, s29, s43
	s_mul_hi_u32 s21, s42, s20
	s_addc_u32 s29, s45, s41
	s_addc_u32 s21, s21, 0
	s_mul_i32 s20, s42, s20
	s_add_u32 s20, s29, s20
	s_addc_u32 s29, 0, s21
	s_add_u32 s41, s44, s20
	s_cselect_b64 s[20:21], -1, 0
	v_ashrrev_i32_e32 v4, 31, v21
	s_cmp_lg_u64 s[20:21], 0
	v_add_co_u32_e32 v15, vcc, v20, v4
	s_addc_u32 s29, s42, s29
	v_xor_b32_e32 v22, v15, v4
	v_addc_co_u32_e32 v20, vcc, v21, v4, vcc
	v_mad_u64_u32 v[15:16], s[20:21], v22, s29, 0
	v_mul_hi_u32 v21, v22, s41
	v_xor_b32_e32 v23, v20, v4
	v_xor_b32_e32 v4, s28, v4
	v_add_co_u32_e32 v24, vcc, v21, v15
	v_addc_co_u32_e32 v25, vcc, 0, v16, vcc
	v_mad_u64_u32 v[15:16], s[20:21], v23, s41, 0
	v_mad_u64_u32 v[20:21], s[20:21], v23, s29, 0
	v_add_co_u32_e32 v15, vcc, v24, v15
	v_addc_co_u32_e32 v15, vcc, v25, v16, vcc
	v_addc_co_u32_e32 v16, vcc, 0, v21, vcc
	v_add_co_u32_e32 v20, vcc, v15, v20
	v_addc_co_u32_e32 v21, vcc, 0, v16, vcc
	v_mul_lo_u32 v24, s39, v20
	v_mul_lo_u32 v25, s38, v21
	v_mad_u64_u32 v[15:16], s[20:21], s38, v20, 0
	v_add3_u32 v16, v16, v25, v24
	v_sub_u32_e32 v24, v23, v16
	v_mov_b32_e32 v25, s39
	v_sub_co_u32_e32 v15, vcc, v22, v15
	v_subb_co_u32_e64 v22, s[20:21], v24, v25, vcc
	v_subrev_co_u32_e64 v24, s[20:21], s38, v15
	v_subbrev_co_u32_e64 v22, s[20:21], 0, v22, s[20:21]
	v_cmp_le_u32_e64 s[20:21], s39, v22
	v_cndmask_b32_e64 v25, 0, -1, s[20:21]
	v_cmp_le_u32_e64 s[20:21], s38, v24
	v_cndmask_b32_e64 v24, 0, -1, s[20:21]
	v_cmp_eq_u32_e64 s[20:21], s39, v22
	v_cndmask_b32_e64 v22, v25, v24, s[20:21]
	v_add_co_u32_e64 v24, s[20:21], 2, v20
	v_subb_co_u32_e32 v16, vcc, v23, v16, vcc
	v_addc_co_u32_e64 v25, s[20:21], 0, v21, s[20:21]
	v_cmp_le_u32_e32 vcc, s39, v16
	v_add_co_u32_e64 v26, s[20:21], 1, v20
	v_cndmask_b32_e64 v23, 0, -1, vcc
	v_cmp_le_u32_e32 vcc, s38, v15
	v_addc_co_u32_e64 v27, s[20:21], 0, v21, s[20:21]
	v_cndmask_b32_e64 v15, 0, -1, vcc
	v_cmp_eq_u32_e32 vcc, s39, v16
	v_cmp_ne_u32_e64 s[20:21], 0, v22
	v_cndmask_b32_e32 v15, v23, v15, vcc
	v_cndmask_b32_e64 v22, v27, v25, s[20:21]
	v_cmp_ne_u32_e32 vcc, 0, v15
	v_cndmask_b32_e64 v16, v26, v24, s[20:21]
	v_cndmask_b32_e32 v15, v21, v22, vcc
	v_cndmask_b32_e32 v16, v20, v16, vcc
	v_xor_b32_e32 v20, v15, v4
	v_xor_b32_e32 v15, v16, v4
	v_sub_co_u32_e32 v15, vcc, v15, v4
	v_subb_co_u32_e32 v16, vcc, v20, v4, vcc
                                        ; implicit-def: $vgpr20
.LBB40_12:                              ;   in Loop: Header=BB40_10 Depth=2
	s_andn2_saveexec_b64 s[20:21], s[36:37]
	s_cbranch_execz .LBB40_14
; %bb.13:                               ;   in Loop: Header=BB40_10 Depth=2
	v_cvt_f32_u32_e32 v4, s26
	v_rcp_iflag_f32_e32 v4, v4
	v_mul_f32_e32 v4, 0x4f7ffffe, v4
	v_cvt_u32_f32_e32 v4, v4
	v_mul_lo_u32 v15, s40, v4
	v_mul_hi_u32 v15, v4, v15
	v_add_u32_e32 v4, v4, v15
	v_mul_hi_u32 v4, v20, v4
	v_mul_lo_u32 v15, v4, s26
	v_add_u32_e32 v16, 1, v4
	v_sub_u32_e32 v15, v20, v15
	v_subrev_u32_e32 v20, s26, v15
	v_cmp_le_u32_e32 vcc, s26, v15
	v_cndmask_b32_e32 v15, v15, v20, vcc
	v_cndmask_b32_e32 v4, v4, v16, vcc
	v_add_u32_e32 v16, 1, v4
	v_cmp_le_u32_e32 vcc, s26, v15
	v_cndmask_b32_e32 v15, v4, v16, vcc
	v_mov_b32_e32 v16, v3
.LBB40_14:                              ;   in Loop: Header=BB40_10 Depth=2
	s_or_b64 exec, exec, s[20:21]
	v_cmp_eq_u64_e32 vcc, v[15:16], v[7:8]
	v_cmp_ne_u64_e64 s[20:21], v[15:16], v[7:8]
	s_and_saveexec_b64 s[36:37], s[20:21]
	s_xor_b64 s[36:37], exec, s[36:37]
; %bb.15:                               ;   in Loop: Header=BB40_10 Depth=2
	v_cmp_lt_i64_e64 s[20:21], v[15:16], v[5:6]
                                        ; implicit-def: $vgpr13_vgpr14
	v_cndmask_b32_e64 v6, v6, v16, s[20:21]
	v_cndmask_b32_e64 v5, v5, v15, s[20:21]
; %bb.16:                               ;   in Loop: Header=BB40_10 Depth=2
	s_or_saveexec_b64 s[20:21], s[36:37]
	v_mov_b32_e32 v16, v10
	v_mov_b32_e32 v15, v9
	s_xor_b64 exec, exec, s[20:21]
	s_cbranch_execz .LBB40_9
; %bb.17:                               ;   in Loop: Header=BB40_10 Depth=2
	v_mov_b32_e32 v16, v14
	v_mov_b32_e32 v15, v13
	ds_write_b8 v3, v19 offset:2056
	s_branch .LBB40_9
.LBB40_18:                              ;   in Loop: Header=BB40_7 Depth=1
	s_or_b64 exec, exec, s[34:35]
.LBB40_19:                              ;   in Loop: Header=BB40_7 Depth=1
	s_or_b64 exec, exec, s[30:31]
	v_mov_b32_dpp v7, v15 row_shr:1 row_mask:0xf bank_mask:0xf
	v_mov_b32_dpp v8, v16 row_shr:1 row_mask:0xf bank_mask:0xf
	v_cmp_lt_i64_e32 vcc, v[7:8], v[15:16]
	s_waitcnt lgkmcnt(0)
	v_cndmask_b32_e32 v8, v16, v8, vcc
	v_cndmask_b32_e32 v7, v15, v7, vcc
	s_barrier
	v_mov_b32_dpp v10, v8 row_shr:2 row_mask:0xf bank_mask:0xf
	v_mov_b32_dpp v9, v7 row_shr:2 row_mask:0xf bank_mask:0xf
	v_cmp_lt_i64_e32 vcc, v[9:10], v[7:8]
	v_cndmask_b32_e32 v8, v8, v10, vcc
	v_cndmask_b32_e32 v7, v7, v9, vcc
	ds_read_u8 v4, v3 offset:2056
	v_mov_b32_dpp v10, v8 row_shr:4 row_mask:0xf bank_mask:0xe
	v_mov_b32_dpp v9, v7 row_shr:4 row_mask:0xf bank_mask:0xe
	v_cmp_lt_i64_e32 vcc, v[9:10], v[7:8]
	v_cndmask_b32_e32 v8, v8, v10, vcc
	v_cndmask_b32_e32 v7, v7, v9, vcc
	ds_bpermute_b32 v9, v17, v7
	ds_bpermute_b32 v10, v17, v8
	s_waitcnt lgkmcnt(2)
	v_readfirstlane_b32 s20, v4
	s_bitcmp1_b32 s20, 0
	s_cselect_b64 s[20:21], -1, 0
	s_and_b64 s[30:31], s[0:1], s[20:21]
	s_and_saveexec_b64 s[20:21], s[30:31]
	s_cbranch_execz .LBB40_21
; %bb.20:                               ;   in Loop: Header=BB40_7 Depth=1
	ds_read_b64 v[7:8], v3 offset:2048
	s_waitcnt lgkmcnt(0)
	v_add_co_u32_e32 v7, vcc, 1, v7
	v_addc_co_u32_e32 v8, vcc, 0, v8, vcc
	ds_write_b64 v3, v[7:8] offset:2048
.LBB40_21:                              ;   in Loop: Header=BB40_7 Depth=1
	s_or_b64 exec, exec, s[20:21]
	ds_write_b64 v18, v[5:6]
	s_waitcnt lgkmcnt(0)
	s_barrier
	s_and_saveexec_b64 s[20:21], s[2:3]
	s_cbranch_execz .LBB40_23
; %bb.22:                               ;   in Loop: Header=BB40_7 Depth=1
	ds_read2st64_b64 v[4:7], v18 offset1:2
	s_waitcnt lgkmcnt(0)
	v_cmp_lt_i64_e32 vcc, v[6:7], v[4:5]
	v_cndmask_b32_e32 v5, v5, v7, vcc
	v_cndmask_b32_e32 v4, v4, v6, vcc
	ds_write_b64 v18, v[4:5]
.LBB40_23:                              ;   in Loop: Header=BB40_7 Depth=1
	s_or_b64 exec, exec, s[20:21]
	s_waitcnt lgkmcnt(0)
	s_barrier
	s_and_saveexec_b64 s[20:21], s[8:9]
	s_cbranch_execz .LBB40_25
; %bb.24:                               ;   in Loop: Header=BB40_7 Depth=1
	ds_read2st64_b64 v[4:7], v18 offset1:1
	s_waitcnt lgkmcnt(0)
	v_cmp_lt_i64_e32 vcc, v[6:7], v[4:5]
	v_cndmask_b32_e32 v5, v5, v7, vcc
	v_cndmask_b32_e32 v4, v4, v6, vcc
	ds_write_b64 v18, v[4:5]
.LBB40_25:                              ;   in Loop: Header=BB40_7 Depth=1
	s_or_b64 exec, exec, s[20:21]
	s_waitcnt lgkmcnt(0)
	s_barrier
	s_and_saveexec_b64 s[20:21], s[10:11]
	s_cbranch_execz .LBB40_27
; %bb.26:                               ;   in Loop: Header=BB40_7 Depth=1
	ds_read2_b64 v[4:7], v18 offset1:32
	s_waitcnt lgkmcnt(0)
	v_cmp_lt_i64_e32 vcc, v[6:7], v[4:5]
	v_cndmask_b32_e32 v5, v5, v7, vcc
	v_cndmask_b32_e32 v4, v4, v6, vcc
	ds_write_b64 v18, v[4:5]
.LBB40_27:                              ;   in Loop: Header=BB40_7 Depth=1
	s_or_b64 exec, exec, s[20:21]
	s_waitcnt lgkmcnt(0)
	s_barrier
	s_and_saveexec_b64 s[20:21], s[12:13]
	s_cbranch_execz .LBB40_29
; %bb.28:                               ;   in Loop: Header=BB40_7 Depth=1
	ds_read2_b64 v[4:7], v18 offset1:16
	s_waitcnt lgkmcnt(0)
	v_cmp_lt_i64_e32 vcc, v[6:7], v[4:5]
	v_cndmask_b32_e32 v5, v5, v7, vcc
	v_cndmask_b32_e32 v4, v4, v6, vcc
	ds_write_b64 v18, v[4:5]
.LBB40_29:                              ;   in Loop: Header=BB40_7 Depth=1
	s_or_b64 exec, exec, s[20:21]
	s_waitcnt lgkmcnt(0)
	s_barrier
	s_and_saveexec_b64 s[20:21], s[14:15]
	s_cbranch_execz .LBB40_31
; %bb.30:                               ;   in Loop: Header=BB40_7 Depth=1
	ds_read2_b64 v[4:7], v18 offset1:8
	s_waitcnt lgkmcnt(0)
	v_cmp_lt_i64_e32 vcc, v[6:7], v[4:5]
	v_cndmask_b32_e32 v5, v5, v7, vcc
	v_cndmask_b32_e32 v4, v4, v6, vcc
	ds_write_b64 v18, v[4:5]
.LBB40_31:                              ;   in Loop: Header=BB40_7 Depth=1
	s_or_b64 exec, exec, s[20:21]
	s_waitcnt lgkmcnt(0)
	s_barrier
	s_and_saveexec_b64 s[20:21], s[16:17]
	s_cbranch_execz .LBB40_33
; %bb.32:                               ;   in Loop: Header=BB40_7 Depth=1
	ds_read2_b64 v[4:7], v18 offset1:4
	s_waitcnt lgkmcnt(0)
	v_cmp_lt_i64_e32 vcc, v[6:7], v[4:5]
	v_cndmask_b32_e32 v5, v5, v7, vcc
	v_cndmask_b32_e32 v4, v4, v6, vcc
	ds_write_b64 v18, v[4:5]
.LBB40_33:                              ;   in Loop: Header=BB40_7 Depth=1
	s_or_b64 exec, exec, s[20:21]
	s_waitcnt lgkmcnt(0)
	s_barrier
	s_and_saveexec_b64 s[20:21], s[18:19]
	s_cbranch_execz .LBB40_35
; %bb.34:                               ;   in Loop: Header=BB40_7 Depth=1
	ds_read2_b64 v[4:7], v18 offset1:2
	s_waitcnt lgkmcnt(0)
	v_cmp_lt_i64_e32 vcc, v[6:7], v[4:5]
	v_cndmask_b32_e32 v5, v5, v7, vcc
	v_cndmask_b32_e32 v4, v4, v6, vcc
	ds_write_b64 v18, v[4:5]
.LBB40_35:                              ;   in Loop: Header=BB40_7 Depth=1
	s_or_b64 exec, exec, s[20:21]
	s_waitcnt lgkmcnt(0)
	s_barrier
	s_and_saveexec_b64 s[20:21], s[0:1]
	s_cbranch_execz .LBB40_6
; %bb.36:                               ;   in Loop: Header=BB40_7 Depth=1
	ds_read_b128 v[4:7], v3
	s_waitcnt lgkmcnt(0)
	v_cmp_lt_i64_e32 vcc, v[6:7], v[4:5]
	v_cndmask_b32_e32 v5, v5, v7, vcc
	v_cndmask_b32_e32 v4, v4, v6, vcc
	ds_write_b64 v3, v[4:5]
	s_branch .LBB40_6
.LBB40_37:
	v_cmp_eq_u32_e32 vcc, 0, v0
	s_and_saveexec_b64 s[0:1], vcc
	s_cbranch_execz .LBB40_39
; %bb.38:
	s_load_dword s8, s[4:5], 0x40
	s_load_dwordx2 s[0:1], s[4:5], 0x48
	v_mov_b32_e32 v1, 0
	ds_read_b64 v[2:3], v1 offset:2048
	s_lshl_b64 s[2:3], s[6:7], 3
	s_waitcnt lgkmcnt(0)
	v_mov_b32_e32 v0, s8
	s_add_u32 s2, s0, s2
	s_addc_u32 s3, s1, s3
	global_store_dwordx2 v1, v[0:1], s[0:1]
	global_store_dwordx2 v1, v[2:3], s[2:3] offset:8
.LBB40_39:
	s_endpgm
	.section	.rodata,"a",@progbits
	.p2align	6, 0x0
	.amdhsa_kernel _ZN9rocsparseL42csr2bsr_nnz_block_per_row_multipass_kernelILj256ELj32EllEEvT2_S1_S1_S1_S1_21rocsparse_index_base_PKT1_PKS1_S2_PS3_
		.amdhsa_group_segment_fixed_size 2064
		.amdhsa_private_segment_fixed_size 0
		.amdhsa_kernarg_size 80
		.amdhsa_user_sgpr_count 6
		.amdhsa_user_sgpr_private_segment_buffer 1
		.amdhsa_user_sgpr_dispatch_ptr 0
		.amdhsa_user_sgpr_queue_ptr 0
		.amdhsa_user_sgpr_kernarg_segment_ptr 1
		.amdhsa_user_sgpr_dispatch_id 0
		.amdhsa_user_sgpr_flat_scratch_init 0
		.amdhsa_user_sgpr_private_segment_size 0
		.amdhsa_uses_dynamic_stack 0
		.amdhsa_system_sgpr_private_segment_wavefront_offset 0
		.amdhsa_system_sgpr_workgroup_id_x 1
		.amdhsa_system_sgpr_workgroup_id_y 0
		.amdhsa_system_sgpr_workgroup_id_z 0
		.amdhsa_system_sgpr_workgroup_info 0
		.amdhsa_system_vgpr_workitem_id 0
		.amdhsa_next_free_vgpr 28
		.amdhsa_next_free_sgpr 48
		.amdhsa_reserve_vcc 1
		.amdhsa_reserve_flat_scratch 0
		.amdhsa_float_round_mode_32 0
		.amdhsa_float_round_mode_16_64 0
		.amdhsa_float_denorm_mode_32 3
		.amdhsa_float_denorm_mode_16_64 3
		.amdhsa_dx10_clamp 1
		.amdhsa_ieee_mode 1
		.amdhsa_fp16_overflow 0
		.amdhsa_exception_fp_ieee_invalid_op 0
		.amdhsa_exception_fp_denorm_src 0
		.amdhsa_exception_fp_ieee_div_zero 0
		.amdhsa_exception_fp_ieee_overflow 0
		.amdhsa_exception_fp_ieee_underflow 0
		.amdhsa_exception_fp_ieee_inexact 0
		.amdhsa_exception_int_div_zero 0
	.end_amdhsa_kernel
	.section	.text._ZN9rocsparseL42csr2bsr_nnz_block_per_row_multipass_kernelILj256ELj32EllEEvT2_S1_S1_S1_S1_21rocsparse_index_base_PKT1_PKS1_S2_PS3_,"axG",@progbits,_ZN9rocsparseL42csr2bsr_nnz_block_per_row_multipass_kernelILj256ELj32EllEEvT2_S1_S1_S1_S1_21rocsparse_index_base_PKT1_PKS1_S2_PS3_,comdat
.Lfunc_end40:
	.size	_ZN9rocsparseL42csr2bsr_nnz_block_per_row_multipass_kernelILj256ELj32EllEEvT2_S1_S1_S1_S1_21rocsparse_index_base_PKT1_PKS1_S2_PS3_, .Lfunc_end40-_ZN9rocsparseL42csr2bsr_nnz_block_per_row_multipass_kernelILj256ELj32EllEEvT2_S1_S1_S1_S1_21rocsparse_index_base_PKT1_PKS1_S2_PS3_
                                        ; -- End function
	.set _ZN9rocsparseL42csr2bsr_nnz_block_per_row_multipass_kernelILj256ELj32EllEEvT2_S1_S1_S1_S1_21rocsparse_index_base_PKT1_PKS1_S2_PS3_.num_vgpr, 28
	.set _ZN9rocsparseL42csr2bsr_nnz_block_per_row_multipass_kernelILj256ELj32EllEEvT2_S1_S1_S1_S1_21rocsparse_index_base_PKT1_PKS1_S2_PS3_.num_agpr, 0
	.set _ZN9rocsparseL42csr2bsr_nnz_block_per_row_multipass_kernelILj256ELj32EllEEvT2_S1_S1_S1_S1_21rocsparse_index_base_PKT1_PKS1_S2_PS3_.numbered_sgpr, 48
	.set _ZN9rocsparseL42csr2bsr_nnz_block_per_row_multipass_kernelILj256ELj32EllEEvT2_S1_S1_S1_S1_21rocsparse_index_base_PKT1_PKS1_S2_PS3_.num_named_barrier, 0
	.set _ZN9rocsparseL42csr2bsr_nnz_block_per_row_multipass_kernelILj256ELj32EllEEvT2_S1_S1_S1_S1_21rocsparse_index_base_PKT1_PKS1_S2_PS3_.private_seg_size, 0
	.set _ZN9rocsparseL42csr2bsr_nnz_block_per_row_multipass_kernelILj256ELj32EllEEvT2_S1_S1_S1_S1_21rocsparse_index_base_PKT1_PKS1_S2_PS3_.uses_vcc, 1
	.set _ZN9rocsparseL42csr2bsr_nnz_block_per_row_multipass_kernelILj256ELj32EllEEvT2_S1_S1_S1_S1_21rocsparse_index_base_PKT1_PKS1_S2_PS3_.uses_flat_scratch, 0
	.set _ZN9rocsparseL42csr2bsr_nnz_block_per_row_multipass_kernelILj256ELj32EllEEvT2_S1_S1_S1_S1_21rocsparse_index_base_PKT1_PKS1_S2_PS3_.has_dyn_sized_stack, 0
	.set _ZN9rocsparseL42csr2bsr_nnz_block_per_row_multipass_kernelILj256ELj32EllEEvT2_S1_S1_S1_S1_21rocsparse_index_base_PKT1_PKS1_S2_PS3_.has_recursion, 0
	.set _ZN9rocsparseL42csr2bsr_nnz_block_per_row_multipass_kernelILj256ELj32EllEEvT2_S1_S1_S1_S1_21rocsparse_index_base_PKT1_PKS1_S2_PS3_.has_indirect_call, 0
	.section	.AMDGPU.csdata,"",@progbits
; Kernel info:
; codeLenInByte = 2108
; TotalNumSgprs: 52
; NumVgprs: 28
; ScratchSize: 0
; MemoryBound: 0
; FloatMode: 240
; IeeeMode: 1
; LDSByteSize: 2064 bytes/workgroup (compile time only)
; SGPRBlocks: 6
; VGPRBlocks: 6
; NumSGPRsForWavesPerEU: 52
; NumVGPRsForWavesPerEU: 28
; Occupancy: 9
; WaveLimiterHint : 0
; COMPUTE_PGM_RSRC2:SCRATCH_EN: 0
; COMPUTE_PGM_RSRC2:USER_SGPR: 6
; COMPUTE_PGM_RSRC2:TRAP_HANDLER: 0
; COMPUTE_PGM_RSRC2:TGID_X_EN: 1
; COMPUTE_PGM_RSRC2:TGID_Y_EN: 0
; COMPUTE_PGM_RSRC2:TGID_Z_EN: 0
; COMPUTE_PGM_RSRC2:TIDIG_COMP_CNT: 0
	.section	.text._ZN9rocsparseL42csr2bsr_nnz_block_per_row_multipass_kernelILj256ELj64EllEEvT2_S1_S1_S1_S1_21rocsparse_index_base_PKT1_PKS1_S2_PS3_,"axG",@progbits,_ZN9rocsparseL42csr2bsr_nnz_block_per_row_multipass_kernelILj256ELj64EllEEvT2_S1_S1_S1_S1_21rocsparse_index_base_PKT1_PKS1_S2_PS3_,comdat
	.globl	_ZN9rocsparseL42csr2bsr_nnz_block_per_row_multipass_kernelILj256ELj64EllEEvT2_S1_S1_S1_S1_21rocsparse_index_base_PKT1_PKS1_S2_PS3_ ; -- Begin function _ZN9rocsparseL42csr2bsr_nnz_block_per_row_multipass_kernelILj256ELj64EllEEvT2_S1_S1_S1_S1_21rocsparse_index_base_PKT1_PKS1_S2_PS3_
	.p2align	8
	.type	_ZN9rocsparseL42csr2bsr_nnz_block_per_row_multipass_kernelILj256ELj64EllEEvT2_S1_S1_S1_S1_21rocsparse_index_base_PKT1_PKS1_S2_PS3_,@function
_ZN9rocsparseL42csr2bsr_nnz_block_per_row_multipass_kernelILj256ELj64EllEEvT2_S1_S1_S1_S1_21rocsparse_index_base_PKT1_PKS1_S2_PS3_: ; @_ZN9rocsparseL42csr2bsr_nnz_block_per_row_multipass_kernelILj256ELj64EllEEvT2_S1_S1_S1_S1_21rocsparse_index_base_PKT1_PKS1_S2_PS3_
; %bb.0:
	s_load_dwordx2 s[0:1], s[4:5], 0x0
	s_load_dwordx4 s[24:27], s[4:5], 0x18
	s_load_dword s33, s[4:5], 0x28
	s_load_dwordx2 s[2:3], s[4:5], 0x30
	v_lshrrev_b32_e32 v1, 2, v0
	v_mov_b32_e32 v2, 0
	v_mov_b32_e32 v3, s6
	s_waitcnt lgkmcnt(0)
	v_mad_u64_u32 v[3:4], s[8:9], s26, v3, v[1:2]
	s_ashr_i32 s7, s6, 31
	s_mul_i32 s8, s27, s6
	s_mul_i32 s9, s26, s7
	s_add_i32 s9, s9, s8
	v_add_u32_e32 v4, s9, v4
	v_mov_b32_e32 v5, v2
	v_mov_b32_e32 v6, v2
	v_cmp_gt_i64_e32 vcc, s[0:1], v[3:4]
	v_cmp_gt_i64_e64 s[0:1], s[26:27], v[1:2]
	ds_write_b64 v2, v[5:6] offset:2048
	v_mov_b32_e32 v1, 0
	v_mov_b32_e32 v9, 0
	v_mov_b32_e32 v2, 0
	v_mov_b32_e32 v10, 0
	s_and_b64 s[0:1], s[0:1], vcc
	s_waitcnt lgkmcnt(0)
	s_barrier
	s_and_saveexec_b64 s[8:9], s[0:1]
	s_cbranch_execz .LBB41_2
; %bb.1:
	v_lshlrev_b64 v[5:6], 3, v[3:4]
	v_mov_b32_e32 v7, s3
	v_add_co_u32_e32 v5, vcc, s2, v5
	v_addc_co_u32_e32 v6, vcc, v7, v6, vcc
	global_load_dwordx2 v[5:6], v[5:6], off
	s_waitcnt vmcnt(0)
	v_subrev_co_u32_e32 v9, vcc, s33, v5
	v_subbrev_co_u32_e32 v10, vcc, 0, v6, vcc
.LBB41_2:
	s_or_b64 exec, exec, s[8:9]
	s_and_saveexec_b64 s[8:9], s[0:1]
	s_cbranch_execz .LBB41_4
; %bb.3:
	v_lshlrev_b64 v[1:2], 3, v[3:4]
	v_mov_b32_e32 v3, s3
	v_add_co_u32_e32 v1, vcc, s2, v1
	v_addc_co_u32_e32 v2, vcc, v3, v2, vcc
	global_load_dwordx2 v[1:2], v[1:2], off offset:8
	s_waitcnt vmcnt(0)
	v_subrev_co_u32_e32 v1, vcc, s33, v1
	v_subbrev_co_u32_e32 v2, vcc, 0, v2, vcc
.LBB41_4:
	s_or_b64 exec, exec, s[8:9]
	v_cmp_lt_i64_e64 s[0:1], s[24:25], 1
	s_and_b64 vcc, exec, s[0:1]
	v_cmp_eq_u32_e64 s[0:1], 0, v0
	s_cbranch_vccnz .LBB41_37
; %bb.5:
	s_load_dwordx2 s[22:23], s[4:5], 0x38
	v_mbcnt_lo_u32_b32 v4, -1, 0
	v_mbcnt_hi_u32_b32 v4, -1, v4
	s_movk_i32 s2, 0x80
	v_mov_b32_e32 v7, 0
	v_mov_b32_e32 v3, 0
	v_lshl_or_b32 v17, v4, 2, 12
	v_lshlrev_b32_e32 v18, 3, v0
	v_cmp_gt_u32_e64 s[2:3], s2, v0
	v_cmp_gt_u32_e64 s[8:9], 64, v0
	;; [unrolled: 1-line block ×7, first 2 shown]
	v_mov_b32_e32 v8, 0
	v_mov_b32_e32 v19, 1
	s_ashr_i32 s28, s27, 31
	s_sub_i32 s40, 0, s26
	s_branch .LBB41_7
.LBB41_6:                               ;   in Loop: Header=BB41_7 Depth=1
	s_or_b64 exec, exec, s[20:21]
	s_waitcnt lgkmcnt(0)
	s_barrier
	ds_read_b64 v[7:8], v3
	s_waitcnt lgkmcnt(0)
	s_barrier
	v_cmp_gt_i64_e32 vcc, s[24:25], v[7:8]
	s_cbranch_vccz .LBB41_37
.LBB41_7:                               ; =>This Loop Header: Depth=1
                                        ;     Child Loop BB41_10 Depth 2
	v_and_b32_e32 v4, 3, v0
	v_add_co_u32_e32 v9, vcc, v9, v4
	v_addc_co_u32_e32 v10, vcc, 0, v10, vcc
	v_cmp_lt_i64_e32 vcc, v[9:10], v[1:2]
	v_mov_b32_e32 v5, s24
	v_mov_b32_e32 v16, v2
	;; [unrolled: 1-line block ×4, first 2 shown]
	ds_write_b8 v3, v3 offset:2056
	s_waitcnt lgkmcnt(0)
	s_barrier
	s_and_saveexec_b64 s[30:31], vcc
	s_cbranch_execz .LBB41_19
; %bb.8:                                ;   in Loop: Header=BB41_7 Depth=1
	v_lshlrev_b64 v[4:5], 3, v[9:10]
	v_mov_b32_e32 v6, s23
	v_add_co_u32_e32 v11, vcc, s22, v4
	v_addc_co_u32_e32 v12, vcc, v6, v5, vcc
	v_mov_b32_e32 v5, s24
	v_mov_b32_e32 v14, v2
	s_mov_b64 s[34:35], 0
	v_mov_b32_e32 v6, s25
	v_mov_b32_e32 v13, v1
	s_branch .LBB41_10
.LBB41_9:                               ;   in Loop: Header=BB41_10 Depth=2
	s_or_b64 exec, exec, s[20:21]
	v_add_co_u32_e64 v9, s[20:21], 4, v9
	v_addc_co_u32_e64 v10, s[20:21], 0, v10, s[20:21]
	v_cmp_ge_i64_e64 s[20:21], v[9:10], v[1:2]
	s_xor_b64 s[36:37], vcc, -1
	s_or_b64 s[20:21], s[36:37], s[20:21]
	v_add_co_u32_e32 v11, vcc, 32, v11
	s_and_b64 s[20:21], exec, s[20:21]
	v_mov_b32_e32 v13, v15
	v_addc_co_u32_e32 v12, vcc, 0, v12, vcc
	s_or_b64 s[34:35], s[20:21], s[34:35]
	v_mov_b32_e32 v14, v16
	s_andn2_b64 exec, exec, s[34:35]
	s_cbranch_execz .LBB41_18
.LBB41_10:                              ;   Parent Loop BB41_7 Depth=1
                                        ; =>  This Inner Loop Header: Depth=2
	global_load_dwordx2 v[15:16], v[11:12], off
	s_waitcnt vmcnt(0)
	v_subrev_co_u32_e32 v20, vcc, s33, v15
	v_subbrev_co_u32_e32 v21, vcc, 0, v16, vcc
	v_or_b32_e32 v4, s27, v21
	v_cmp_ne_u64_e32 vcc, 0, v[3:4]
                                        ; implicit-def: $vgpr15_vgpr16
	s_and_saveexec_b64 s[20:21], vcc
	s_xor_b64 s[36:37], exec, s[20:21]
	s_cbranch_execz .LBB41_12
; %bb.11:                               ;   in Loop: Header=BB41_10 Depth=2
	s_add_u32 s20, s26, s28
	s_mov_b32 s29, s28
	s_addc_u32 s21, s27, s28
	s_xor_b64 s[38:39], s[20:21], s[28:29]
	v_cvt_f32_u32_e32 v4, s38
	v_cvt_f32_u32_e32 v15, s39
	s_sub_u32 s29, 0, s38
	s_subb_u32 s41, 0, s39
	v_mac_f32_e32 v4, 0x4f800000, v15
	v_rcp_f32_e32 v4, v4
	v_mul_f32_e32 v4, 0x5f7ffffc, v4
	v_mul_f32_e32 v15, 0x2f800000, v4
	v_trunc_f32_e32 v15, v15
	v_mac_f32_e32 v4, 0xcf800000, v15
	v_cvt_u32_f32_e32 v15, v15
	v_cvt_u32_f32_e32 v4, v4
	v_readfirstlane_b32 s42, v15
	v_readfirstlane_b32 s20, v4
	s_mul_i32 s21, s29, s42
	s_mul_hi_u32 s44, s29, s20
	s_mul_i32 s43, s41, s20
	s_add_i32 s21, s44, s21
	s_add_i32 s21, s21, s43
	s_mul_i32 s45, s29, s20
	s_mul_i32 s44, s20, s21
	s_mul_hi_u32 s46, s20, s45
	s_mul_hi_u32 s43, s20, s21
	s_add_u32 s44, s46, s44
	s_addc_u32 s43, 0, s43
	s_mul_hi_u32 s47, s42, s45
	s_mul_i32 s45, s42, s45
	s_add_u32 s44, s44, s45
	s_mul_hi_u32 s46, s42, s21
	s_addc_u32 s43, s43, s47
	s_addc_u32 s44, s46, 0
	s_mul_i32 s21, s42, s21
	s_add_u32 s21, s43, s21
	s_addc_u32 s43, 0, s44
	s_add_u32 s44, s20, s21
	s_cselect_b64 s[20:21], -1, 0
	s_cmp_lg_u64 s[20:21], 0
	s_addc_u32 s42, s42, s43
	s_mul_i32 s20, s29, s42
	s_mul_hi_u32 s21, s29, s44
	s_add_i32 s20, s21, s20
	s_mul_i32 s41, s41, s44
	s_add_i32 s20, s20, s41
	s_mul_i32 s29, s29, s44
	s_mul_hi_u32 s41, s42, s29
	s_mul_i32 s43, s42, s29
	s_mul_i32 s46, s44, s20
	s_mul_hi_u32 s29, s44, s29
	s_mul_hi_u32 s45, s44, s20
	s_add_u32 s29, s29, s46
	s_addc_u32 s45, 0, s45
	s_add_u32 s29, s29, s43
	s_mul_hi_u32 s21, s42, s20
	s_addc_u32 s29, s45, s41
	s_addc_u32 s21, s21, 0
	s_mul_i32 s20, s42, s20
	s_add_u32 s20, s29, s20
	s_addc_u32 s29, 0, s21
	s_add_u32 s41, s44, s20
	s_cselect_b64 s[20:21], -1, 0
	v_ashrrev_i32_e32 v4, 31, v21
	s_cmp_lg_u64 s[20:21], 0
	v_add_co_u32_e32 v15, vcc, v20, v4
	s_addc_u32 s29, s42, s29
	v_xor_b32_e32 v22, v15, v4
	v_addc_co_u32_e32 v20, vcc, v21, v4, vcc
	v_mad_u64_u32 v[15:16], s[20:21], v22, s29, 0
	v_mul_hi_u32 v21, v22, s41
	v_xor_b32_e32 v23, v20, v4
	v_xor_b32_e32 v4, s28, v4
	v_add_co_u32_e32 v24, vcc, v21, v15
	v_addc_co_u32_e32 v25, vcc, 0, v16, vcc
	v_mad_u64_u32 v[15:16], s[20:21], v23, s41, 0
	v_mad_u64_u32 v[20:21], s[20:21], v23, s29, 0
	v_add_co_u32_e32 v15, vcc, v24, v15
	v_addc_co_u32_e32 v15, vcc, v25, v16, vcc
	v_addc_co_u32_e32 v16, vcc, 0, v21, vcc
	v_add_co_u32_e32 v20, vcc, v15, v20
	v_addc_co_u32_e32 v21, vcc, 0, v16, vcc
	v_mul_lo_u32 v24, s39, v20
	v_mul_lo_u32 v25, s38, v21
	v_mad_u64_u32 v[15:16], s[20:21], s38, v20, 0
	v_add3_u32 v16, v16, v25, v24
	v_sub_u32_e32 v24, v23, v16
	v_mov_b32_e32 v25, s39
	v_sub_co_u32_e32 v15, vcc, v22, v15
	v_subb_co_u32_e64 v22, s[20:21], v24, v25, vcc
	v_subrev_co_u32_e64 v24, s[20:21], s38, v15
	v_subbrev_co_u32_e64 v22, s[20:21], 0, v22, s[20:21]
	v_cmp_le_u32_e64 s[20:21], s39, v22
	v_cndmask_b32_e64 v25, 0, -1, s[20:21]
	v_cmp_le_u32_e64 s[20:21], s38, v24
	v_cndmask_b32_e64 v24, 0, -1, s[20:21]
	v_cmp_eq_u32_e64 s[20:21], s39, v22
	v_cndmask_b32_e64 v22, v25, v24, s[20:21]
	v_add_co_u32_e64 v24, s[20:21], 2, v20
	v_subb_co_u32_e32 v16, vcc, v23, v16, vcc
	v_addc_co_u32_e64 v25, s[20:21], 0, v21, s[20:21]
	v_cmp_le_u32_e32 vcc, s39, v16
	v_add_co_u32_e64 v26, s[20:21], 1, v20
	v_cndmask_b32_e64 v23, 0, -1, vcc
	v_cmp_le_u32_e32 vcc, s38, v15
	v_addc_co_u32_e64 v27, s[20:21], 0, v21, s[20:21]
	v_cndmask_b32_e64 v15, 0, -1, vcc
	v_cmp_eq_u32_e32 vcc, s39, v16
	v_cmp_ne_u32_e64 s[20:21], 0, v22
	v_cndmask_b32_e32 v15, v23, v15, vcc
	v_cndmask_b32_e64 v22, v27, v25, s[20:21]
	v_cmp_ne_u32_e32 vcc, 0, v15
	v_cndmask_b32_e64 v16, v26, v24, s[20:21]
	v_cndmask_b32_e32 v15, v21, v22, vcc
	v_cndmask_b32_e32 v16, v20, v16, vcc
	v_xor_b32_e32 v20, v15, v4
	v_xor_b32_e32 v15, v16, v4
	v_sub_co_u32_e32 v15, vcc, v15, v4
	v_subb_co_u32_e32 v16, vcc, v20, v4, vcc
                                        ; implicit-def: $vgpr20
.LBB41_12:                              ;   in Loop: Header=BB41_10 Depth=2
	s_andn2_saveexec_b64 s[20:21], s[36:37]
	s_cbranch_execz .LBB41_14
; %bb.13:                               ;   in Loop: Header=BB41_10 Depth=2
	v_cvt_f32_u32_e32 v4, s26
	v_rcp_iflag_f32_e32 v4, v4
	v_mul_f32_e32 v4, 0x4f7ffffe, v4
	v_cvt_u32_f32_e32 v4, v4
	v_mul_lo_u32 v15, s40, v4
	v_mul_hi_u32 v15, v4, v15
	v_add_u32_e32 v4, v4, v15
	v_mul_hi_u32 v4, v20, v4
	v_mul_lo_u32 v15, v4, s26
	v_add_u32_e32 v16, 1, v4
	v_sub_u32_e32 v15, v20, v15
	v_subrev_u32_e32 v20, s26, v15
	v_cmp_le_u32_e32 vcc, s26, v15
	v_cndmask_b32_e32 v15, v15, v20, vcc
	v_cndmask_b32_e32 v4, v4, v16, vcc
	v_add_u32_e32 v16, 1, v4
	v_cmp_le_u32_e32 vcc, s26, v15
	v_cndmask_b32_e32 v15, v4, v16, vcc
	v_mov_b32_e32 v16, v3
.LBB41_14:                              ;   in Loop: Header=BB41_10 Depth=2
	s_or_b64 exec, exec, s[20:21]
	v_cmp_eq_u64_e32 vcc, v[15:16], v[7:8]
	v_cmp_ne_u64_e64 s[20:21], v[15:16], v[7:8]
	s_and_saveexec_b64 s[36:37], s[20:21]
	s_xor_b64 s[36:37], exec, s[36:37]
; %bb.15:                               ;   in Loop: Header=BB41_10 Depth=2
	v_cmp_lt_i64_e64 s[20:21], v[15:16], v[5:6]
                                        ; implicit-def: $vgpr13_vgpr14
	v_cndmask_b32_e64 v6, v6, v16, s[20:21]
	v_cndmask_b32_e64 v5, v5, v15, s[20:21]
; %bb.16:                               ;   in Loop: Header=BB41_10 Depth=2
	s_or_saveexec_b64 s[20:21], s[36:37]
	v_mov_b32_e32 v16, v10
	v_mov_b32_e32 v15, v9
	s_xor_b64 exec, exec, s[20:21]
	s_cbranch_execz .LBB41_9
; %bb.17:                               ;   in Loop: Header=BB41_10 Depth=2
	v_mov_b32_e32 v16, v14
	v_mov_b32_e32 v15, v13
	ds_write_b8 v3, v19 offset:2056
	s_branch .LBB41_9
.LBB41_18:                              ;   in Loop: Header=BB41_7 Depth=1
	s_or_b64 exec, exec, s[34:35]
.LBB41_19:                              ;   in Loop: Header=BB41_7 Depth=1
	s_or_b64 exec, exec, s[30:31]
	v_mov_b32_dpp v7, v15 row_shr:1 row_mask:0xf bank_mask:0xf
	v_mov_b32_dpp v8, v16 row_shr:1 row_mask:0xf bank_mask:0xf
	v_cmp_lt_i64_e32 vcc, v[7:8], v[15:16]
	s_waitcnt lgkmcnt(0)
	v_cndmask_b32_e32 v8, v16, v8, vcc
	v_cndmask_b32_e32 v7, v15, v7, vcc
	s_barrier
	s_nop 0
	v_mov_b32_dpp v9, v7 row_shr:2 row_mask:0xf bank_mask:0xf
	v_mov_b32_dpp v10, v8 row_shr:2 row_mask:0xf bank_mask:0xf
	ds_read_u8 v4, v3 offset:2056
	v_cmp_lt_i64_e32 vcc, v[9:10], v[7:8]
	v_cndmask_b32_e32 v8, v8, v10, vcc
	v_cndmask_b32_e32 v7, v7, v9, vcc
	ds_bpermute_b32 v9, v17, v7
	ds_bpermute_b32 v10, v17, v8
	s_waitcnt lgkmcnt(2)
	v_readfirstlane_b32 s20, v4
	s_bitcmp1_b32 s20, 0
	s_cselect_b64 s[20:21], -1, 0
	s_and_b64 s[30:31], s[0:1], s[20:21]
	s_and_saveexec_b64 s[20:21], s[30:31]
	s_cbranch_execz .LBB41_21
; %bb.20:                               ;   in Loop: Header=BB41_7 Depth=1
	ds_read_b64 v[7:8], v3 offset:2048
	s_waitcnt lgkmcnt(0)
	v_add_co_u32_e32 v7, vcc, 1, v7
	v_addc_co_u32_e32 v8, vcc, 0, v8, vcc
	ds_write_b64 v3, v[7:8] offset:2048
.LBB41_21:                              ;   in Loop: Header=BB41_7 Depth=1
	s_or_b64 exec, exec, s[20:21]
	ds_write_b64 v18, v[5:6]
	s_waitcnt lgkmcnt(0)
	s_barrier
	s_and_saveexec_b64 s[20:21], s[2:3]
	s_cbranch_execz .LBB41_23
; %bb.22:                               ;   in Loop: Header=BB41_7 Depth=1
	ds_read2st64_b64 v[4:7], v18 offset1:2
	s_waitcnt lgkmcnt(0)
	v_cmp_lt_i64_e32 vcc, v[6:7], v[4:5]
	v_cndmask_b32_e32 v5, v5, v7, vcc
	v_cndmask_b32_e32 v4, v4, v6, vcc
	ds_write_b64 v18, v[4:5]
.LBB41_23:                              ;   in Loop: Header=BB41_7 Depth=1
	s_or_b64 exec, exec, s[20:21]
	s_waitcnt lgkmcnt(0)
	s_barrier
	s_and_saveexec_b64 s[20:21], s[8:9]
	s_cbranch_execz .LBB41_25
; %bb.24:                               ;   in Loop: Header=BB41_7 Depth=1
	ds_read2st64_b64 v[4:7], v18 offset1:1
	s_waitcnt lgkmcnt(0)
	v_cmp_lt_i64_e32 vcc, v[6:7], v[4:5]
	v_cndmask_b32_e32 v5, v5, v7, vcc
	v_cndmask_b32_e32 v4, v4, v6, vcc
	ds_write_b64 v18, v[4:5]
.LBB41_25:                              ;   in Loop: Header=BB41_7 Depth=1
	s_or_b64 exec, exec, s[20:21]
	s_waitcnt lgkmcnt(0)
	s_barrier
	s_and_saveexec_b64 s[20:21], s[10:11]
	s_cbranch_execz .LBB41_27
; %bb.26:                               ;   in Loop: Header=BB41_7 Depth=1
	ds_read2_b64 v[4:7], v18 offset1:32
	s_waitcnt lgkmcnt(0)
	v_cmp_lt_i64_e32 vcc, v[6:7], v[4:5]
	v_cndmask_b32_e32 v5, v5, v7, vcc
	v_cndmask_b32_e32 v4, v4, v6, vcc
	ds_write_b64 v18, v[4:5]
.LBB41_27:                              ;   in Loop: Header=BB41_7 Depth=1
	s_or_b64 exec, exec, s[20:21]
	s_waitcnt lgkmcnt(0)
	s_barrier
	s_and_saveexec_b64 s[20:21], s[12:13]
	s_cbranch_execz .LBB41_29
; %bb.28:                               ;   in Loop: Header=BB41_7 Depth=1
	ds_read2_b64 v[4:7], v18 offset1:16
	s_waitcnt lgkmcnt(0)
	v_cmp_lt_i64_e32 vcc, v[6:7], v[4:5]
	v_cndmask_b32_e32 v5, v5, v7, vcc
	v_cndmask_b32_e32 v4, v4, v6, vcc
	ds_write_b64 v18, v[4:5]
.LBB41_29:                              ;   in Loop: Header=BB41_7 Depth=1
	;; [unrolled: 13-line block ×5, first 2 shown]
	s_or_b64 exec, exec, s[20:21]
	s_waitcnt lgkmcnt(0)
	s_barrier
	s_and_saveexec_b64 s[20:21], s[0:1]
	s_cbranch_execz .LBB41_6
; %bb.36:                               ;   in Loop: Header=BB41_7 Depth=1
	ds_read_b128 v[4:7], v3
	s_waitcnt lgkmcnt(0)
	v_cmp_lt_i64_e32 vcc, v[6:7], v[4:5]
	v_cndmask_b32_e32 v5, v5, v7, vcc
	v_cndmask_b32_e32 v4, v4, v6, vcc
	ds_write_b64 v3, v[4:5]
	s_branch .LBB41_6
.LBB41_37:
	v_cmp_eq_u32_e32 vcc, 0, v0
	s_and_saveexec_b64 s[0:1], vcc
	s_cbranch_execz .LBB41_39
; %bb.38:
	s_load_dword s8, s[4:5], 0x40
	s_load_dwordx2 s[0:1], s[4:5], 0x48
	v_mov_b32_e32 v1, 0
	ds_read_b64 v[2:3], v1 offset:2048
	s_lshl_b64 s[2:3], s[6:7], 3
	s_waitcnt lgkmcnt(0)
	v_mov_b32_e32 v0, s8
	s_add_u32 s2, s0, s2
	s_addc_u32 s3, s1, s3
	global_store_dwordx2 v1, v[0:1], s[0:1]
	global_store_dwordx2 v1, v[2:3], s[2:3] offset:8
.LBB41_39:
	s_endpgm
	.section	.rodata,"a",@progbits
	.p2align	6, 0x0
	.amdhsa_kernel _ZN9rocsparseL42csr2bsr_nnz_block_per_row_multipass_kernelILj256ELj64EllEEvT2_S1_S1_S1_S1_21rocsparse_index_base_PKT1_PKS1_S2_PS3_
		.amdhsa_group_segment_fixed_size 2064
		.amdhsa_private_segment_fixed_size 0
		.amdhsa_kernarg_size 80
		.amdhsa_user_sgpr_count 6
		.amdhsa_user_sgpr_private_segment_buffer 1
		.amdhsa_user_sgpr_dispatch_ptr 0
		.amdhsa_user_sgpr_queue_ptr 0
		.amdhsa_user_sgpr_kernarg_segment_ptr 1
		.amdhsa_user_sgpr_dispatch_id 0
		.amdhsa_user_sgpr_flat_scratch_init 0
		.amdhsa_user_sgpr_private_segment_size 0
		.amdhsa_uses_dynamic_stack 0
		.amdhsa_system_sgpr_private_segment_wavefront_offset 0
		.amdhsa_system_sgpr_workgroup_id_x 1
		.amdhsa_system_sgpr_workgroup_id_y 0
		.amdhsa_system_sgpr_workgroup_id_z 0
		.amdhsa_system_sgpr_workgroup_info 0
		.amdhsa_system_vgpr_workitem_id 0
		.amdhsa_next_free_vgpr 28
		.amdhsa_next_free_sgpr 48
		.amdhsa_reserve_vcc 1
		.amdhsa_reserve_flat_scratch 0
		.amdhsa_float_round_mode_32 0
		.amdhsa_float_round_mode_16_64 0
		.amdhsa_float_denorm_mode_32 3
		.amdhsa_float_denorm_mode_16_64 3
		.amdhsa_dx10_clamp 1
		.amdhsa_ieee_mode 1
		.amdhsa_fp16_overflow 0
		.amdhsa_exception_fp_ieee_invalid_op 0
		.amdhsa_exception_fp_denorm_src 0
		.amdhsa_exception_fp_ieee_div_zero 0
		.amdhsa_exception_fp_ieee_overflow 0
		.amdhsa_exception_fp_ieee_underflow 0
		.amdhsa_exception_fp_ieee_inexact 0
		.amdhsa_exception_int_div_zero 0
	.end_amdhsa_kernel
	.section	.text._ZN9rocsparseL42csr2bsr_nnz_block_per_row_multipass_kernelILj256ELj64EllEEvT2_S1_S1_S1_S1_21rocsparse_index_base_PKT1_PKS1_S2_PS3_,"axG",@progbits,_ZN9rocsparseL42csr2bsr_nnz_block_per_row_multipass_kernelILj256ELj64EllEEvT2_S1_S1_S1_S1_21rocsparse_index_base_PKT1_PKS1_S2_PS3_,comdat
.Lfunc_end41:
	.size	_ZN9rocsparseL42csr2bsr_nnz_block_per_row_multipass_kernelILj256ELj64EllEEvT2_S1_S1_S1_S1_21rocsparse_index_base_PKT1_PKS1_S2_PS3_, .Lfunc_end41-_ZN9rocsparseL42csr2bsr_nnz_block_per_row_multipass_kernelILj256ELj64EllEEvT2_S1_S1_S1_S1_21rocsparse_index_base_PKT1_PKS1_S2_PS3_
                                        ; -- End function
	.set _ZN9rocsparseL42csr2bsr_nnz_block_per_row_multipass_kernelILj256ELj64EllEEvT2_S1_S1_S1_S1_21rocsparse_index_base_PKT1_PKS1_S2_PS3_.num_vgpr, 28
	.set _ZN9rocsparseL42csr2bsr_nnz_block_per_row_multipass_kernelILj256ELj64EllEEvT2_S1_S1_S1_S1_21rocsparse_index_base_PKT1_PKS1_S2_PS3_.num_agpr, 0
	.set _ZN9rocsparseL42csr2bsr_nnz_block_per_row_multipass_kernelILj256ELj64EllEEvT2_S1_S1_S1_S1_21rocsparse_index_base_PKT1_PKS1_S2_PS3_.numbered_sgpr, 48
	.set _ZN9rocsparseL42csr2bsr_nnz_block_per_row_multipass_kernelILj256ELj64EllEEvT2_S1_S1_S1_S1_21rocsparse_index_base_PKT1_PKS1_S2_PS3_.num_named_barrier, 0
	.set _ZN9rocsparseL42csr2bsr_nnz_block_per_row_multipass_kernelILj256ELj64EllEEvT2_S1_S1_S1_S1_21rocsparse_index_base_PKT1_PKS1_S2_PS3_.private_seg_size, 0
	.set _ZN9rocsparseL42csr2bsr_nnz_block_per_row_multipass_kernelILj256ELj64EllEEvT2_S1_S1_S1_S1_21rocsparse_index_base_PKT1_PKS1_S2_PS3_.uses_vcc, 1
	.set _ZN9rocsparseL42csr2bsr_nnz_block_per_row_multipass_kernelILj256ELj64EllEEvT2_S1_S1_S1_S1_21rocsparse_index_base_PKT1_PKS1_S2_PS3_.uses_flat_scratch, 0
	.set _ZN9rocsparseL42csr2bsr_nnz_block_per_row_multipass_kernelILj256ELj64EllEEvT2_S1_S1_S1_S1_21rocsparse_index_base_PKT1_PKS1_S2_PS3_.has_dyn_sized_stack, 0
	.set _ZN9rocsparseL42csr2bsr_nnz_block_per_row_multipass_kernelILj256ELj64EllEEvT2_S1_S1_S1_S1_21rocsparse_index_base_PKT1_PKS1_S2_PS3_.has_recursion, 0
	.set _ZN9rocsparseL42csr2bsr_nnz_block_per_row_multipass_kernelILj256ELj64EllEEvT2_S1_S1_S1_S1_21rocsparse_index_base_PKT1_PKS1_S2_PS3_.has_indirect_call, 0
	.section	.AMDGPU.csdata,"",@progbits
; Kernel info:
; codeLenInByte = 2084
; TotalNumSgprs: 52
; NumVgprs: 28
; ScratchSize: 0
; MemoryBound: 0
; FloatMode: 240
; IeeeMode: 1
; LDSByteSize: 2064 bytes/workgroup (compile time only)
; SGPRBlocks: 6
; VGPRBlocks: 6
; NumSGPRsForWavesPerEU: 52
; NumVGPRsForWavesPerEU: 28
; Occupancy: 9
; WaveLimiterHint : 0
; COMPUTE_PGM_RSRC2:SCRATCH_EN: 0
; COMPUTE_PGM_RSRC2:USER_SGPR: 6
; COMPUTE_PGM_RSRC2:TRAP_HANDLER: 0
; COMPUTE_PGM_RSRC2:TGID_X_EN: 1
; COMPUTE_PGM_RSRC2:TGID_Y_EN: 0
; COMPUTE_PGM_RSRC2:TGID_Z_EN: 0
; COMPUTE_PGM_RSRC2:TIDIG_COMP_CNT: 0
	.section	.text._ZN9rocsparseL25csr2bsr_nnz_65_inf_kernelILj32EllEEvT1_S1_S1_S1_S1_S1_21rocsparse_index_base_PKT0_PKS1_S2_PS3_S8_,"axG",@progbits,_ZN9rocsparseL25csr2bsr_nnz_65_inf_kernelILj32EllEEvT1_S1_S1_S1_S1_S1_21rocsparse_index_base_PKT0_PKS1_S2_PS3_S8_,comdat
	.globl	_ZN9rocsparseL25csr2bsr_nnz_65_inf_kernelILj32EllEEvT1_S1_S1_S1_S1_S1_21rocsparse_index_base_PKT0_PKS1_S2_PS3_S8_ ; -- Begin function _ZN9rocsparseL25csr2bsr_nnz_65_inf_kernelILj32EllEEvT1_S1_S1_S1_S1_S1_21rocsparse_index_base_PKT0_PKS1_S2_PS3_S8_
	.p2align	8
	.type	_ZN9rocsparseL25csr2bsr_nnz_65_inf_kernelILj32EllEEvT1_S1_S1_S1_S1_S1_21rocsparse_index_base_PKT0_PKS1_S2_PS3_S8_,@function
_ZN9rocsparseL25csr2bsr_nnz_65_inf_kernelILj32EllEEvT1_S1_S1_S1_S1_S1_21rocsparse_index_base_PKT0_PKS1_S2_PS3_S8_: ; @_ZN9rocsparseL25csr2bsr_nnz_65_inf_kernelILj32EllEEvT1_S1_S1_S1_S1_S1_21rocsparse_index_base_PKT0_PKS1_S2_PS3_S8_
; %bb.0:
	s_load_dwordx8 s[12:19], s[4:5], 0x10
	s_load_dwordx2 s[0:1], s[4:5], 0x58
	s_load_dword s33, s[4:5], 0x30
	s_mov_b32 s7, 0
	v_mov_b32_e32 v1, 0
	s_waitcnt lgkmcnt(0)
	v_mad_u64_u32 v[2:3], s[2:3], s18, v0, 0
	s_mul_i32 s8, s6, s19
	s_mul_hi_u32 s2, s6, s18
	s_add_i32 s3, s2, s8
	v_mad_u64_u32 v[3:4], s[8:9], s19, v0, v[3:4]
	s_mul_i32 s2, s6, s18
	s_lshl_b64 s[2:3], s[2:3], 9
	s_add_u32 s2, s0, s2
	v_lshlrev_b64 v[4:5], 3, v[2:3]
	s_addc_u32 s3, s1, s3
	s_lshl_b64 s[0:1], s[18:19], 8
	v_mov_b32_e32 v3, s3
	v_add_co_u32_e32 v2, vcc, s2, v4
	s_add_u32 s0, s2, s0
	v_addc_co_u32_e32 v3, vcc, v3, v5, vcc
	s_addc_u32 s1, s3, s1
	v_mov_b32_e32 v6, s1
	v_add_co_u32_e32 v4, vcc, s0, v4
	v_cmp_lt_i64_e64 s[0:1], s[18:19], 1
	v_addc_co_u32_e32 v5, vcc, v6, v5, vcc
	v_cmp_gt_i64_e64 s[2:3], s[18:19], 0
	s_and_b64 vcc, exec, s[0:1]
	s_cbranch_vccnz .LBB42_5
; %bb.1:
	s_mul_i32 s10, s17, s6
	s_mul_hi_u32 s11, s16, s6
	s_add_i32 s22, s11, s10
	s_mul_i32 s23, s16, s6
	s_load_dwordx2 s[0:1], s[4:5], 0x38
	s_load_dwordx2 s[8:9], s[4:5], 0x0
	v_mov_b32_e32 v7, s22
	v_add_co_u32_e32 v6, vcc, s23, v0
	v_addc_co_u32_e32 v7, vcc, 0, v7, vcc
	v_lshlrev_b64 v[6:7], 3, v[6:7]
	s_waitcnt lgkmcnt(0)
	v_mov_b32_e32 v8, s1
	v_add_co_u32_e32 v6, vcc, s0, v6
	v_addc_co_u32_e32 v7, vcc, v8, v7, vcc
	v_add_co_u32_e32 v6, vcc, 8, v6
	v_mov_b32_e32 v9, v5
	v_mov_b32_e32 v11, v1
	;; [unrolled: 1-line block ×3, first 2 shown]
	v_addc_co_u32_e32 v7, vcc, 0, v7, vcc
	s_mov_b32 s10, s7
	s_mov_b32 s11, s7
	v_mov_b32_e32 v8, v4
	v_mov_b32_e32 v10, v0
	;; [unrolled: 1-line block ×3, first 2 shown]
	s_mov_b64 s[20:21], s[18:19]
	s_branch .LBB42_3
.LBB42_2:                               ;   in Loop: Header=BB42_3 Depth=1
	s_or_b64 exec, exec, s[0:1]
	v_add_co_u32_e32 v12, vcc, 8, v12
	v_addc_co_u32_e32 v13, vcc, 0, v13, vcc
	v_add_co_u32_e32 v6, vcc, 0x100, v6
	v_addc_co_u32_e32 v7, vcc, 0, v7, vcc
	v_add_co_u32_e32 v10, vcc, 32, v10
	s_add_u32 s20, s20, -1
	v_addc_co_u32_e32 v11, vcc, 0, v11, vcc
	s_addc_u32 s21, s21, -1
	v_add_co_u32_e32 v8, vcc, 8, v8
	s_cmp_eq_u64 s[20:21], 0
	v_addc_co_u32_e32 v9, vcc, 0, v9, vcc
	s_cbranch_scc1 .LBB42_5
.LBB42_3:                               ; =>This Inner Loop Header: Depth=1
	v_mov_b32_e32 v1, s22
	v_add_co_u32_e32 v16, vcc, s23, v10
	v_addc_co_u32_e32 v17, vcc, v1, v11, vcc
	v_cmp_gt_i64_e32 vcc, s[8:9], v[16:17]
	v_cmp_gt_i64_e64 s[0:1], s[16:17], v[10:11]
	v_mov_b32_e32 v15, s11
	v_mov_b32_e32 v14, s10
	s_and_b64 s[24:25], vcc, s[0:1]
	global_store_dwordx2 v[12:13], v[14:15], off
	global_store_dwordx2 v[8:9], v[14:15], off
	s_and_saveexec_b64 s[0:1], s[24:25]
	s_cbranch_execz .LBB42_2
; %bb.4:                                ;   in Loop: Header=BB42_3 Depth=1
	global_load_dwordx4 v[14:17], v[6:7], off offset:-8
	s_waitcnt vmcnt(0)
	v_subrev_co_u32_e32 v14, vcc, s33, v14
	v_subbrev_co_u32_e32 v15, vcc, 0, v15, vcc
	v_subrev_co_u32_e32 v16, vcc, s33, v16
	v_subbrev_co_u32_e32 v17, vcc, 0, v17, vcc
	global_store_dwordx2 v[12:13], v[14:15], off
	global_store_dwordx2 v[8:9], v[16:17], off
	s_branch .LBB42_2
.LBB42_5:
	s_load_dwordx2 s[10:11], s[4:5], 0x50
	v_cmp_lt_i64_e64 s[0:1], s[14:15], 1
	s_and_b64 vcc, exec, s[0:1]
	v_cmp_eq_u32_e64 s[0:1], 31, v0
	s_cbranch_vccnz .LBB42_24
; %bb.6:
	s_load_dwordx2 s[20:21], s[4:5], 0x40
	v_mbcnt_lo_u32_b32 v1, -1, 0
	v_mbcnt_hi_u32_b32 v1, -1, v1
	v_mov_b32_e32 v6, 0x7c
	v_lshl_or_b32 v1, v1, 2, v6
	v_mov_b32_e32 v10, 0
	v_mov_b32_e32 v6, 0
	v_cndmask_b32_e64 v8, 0, 1, s[2:3]
	s_mov_b64 s[22:23], 0
	v_mov_b32_e32 v11, 0
	v_mov_b32_e32 v7, 0
	v_cmp_ne_u32_e64 s[2:3], 1, v8
	v_mov_b32_e32 v8, 0
	s_ashr_i32 s24, s17, 31
	s_branch .LBB42_8
.LBB42_7:                               ;   in Loop: Header=BB42_8 Depth=1
	v_mov_b32_dpp v9, v12 row_shr:1 row_mask:0xf bank_mask:0xf
	v_mov_b32_dpp v10, v13 row_shr:1 row_mask:0xf bank_mask:0xf
	v_cmp_lt_i64_e32 vcc, v[9:10], v[12:13]
	v_cndmask_b32_e32 v10, v13, v10, vcc
	v_cndmask_b32_e32 v9, v12, v9, vcc
	s_nop 0
	v_mov_b32_dpp v12, v10 row_shr:2 row_mask:0xf bank_mask:0xf
	v_mov_b32_dpp v11, v9 row_shr:2 row_mask:0xf bank_mask:0xf
	v_cmp_lt_i64_e32 vcc, v[11:12], v[9:10]
	v_cndmask_b32_e32 v10, v10, v12, vcc
	v_cndmask_b32_e32 v9, v9, v11, vcc
	s_nop 0
	;; [unrolled: 6-line block ×4, first 2 shown]
	v_mov_b32_dpp v12, v10 row_bcast:15 row_mask:0xa bank_mask:0xf
	v_mov_b32_dpp v11, v9 row_bcast:15 row_mask:0xa bank_mask:0xf
	v_cmp_lt_i64_e32 vcc, v[11:12], v[9:10]
	v_cndmask_b32_e32 v9, v9, v11, vcc
	v_cndmask_b32_e32 v10, v10, v12, vcc
	ds_bpermute_b32 v12, v1, v9
	ds_bpermute_b32 v13, v1, v10
	s_waitcnt lgkmcnt(0)
	v_add_co_u32_e32 v10, vcc, 1, v12
	v_addc_co_u32_e32 v11, vcc, 0, v13, vcc
	v_cmp_gt_i64_e32 vcc, s[14:15], v[12:13]
	v_cmp_le_i64_e64 s[8:9], s[14:15], v[10:11]
	s_and_b64 s[26:27], s[0:1], vcc
	v_cndmask_b32_e64 v9, 0, 1, s[26:27]
	v_add_co_u32_e32 v6, vcc, v6, v9
	s_or_b64 s[22:23], s[8:9], s[22:23]
	v_addc_co_u32_e32 v7, vcc, 0, v7, vcc
	s_andn2_b64 exec, exec, s[22:23]
	s_cbranch_execz .LBB42_23
.LBB42_8:                               ; =>This Loop Header: Depth=1
                                        ;     Child Loop BB42_12 Depth 2
                                        ;       Child Loop BB42_15 Depth 3
	v_mov_b32_e32 v12, s14
	s_and_b64 vcc, exec, s[2:3]
	v_mov_b32_e32 v13, s15
	s_cbranch_vccnz .LBB42_7
; %bb.9:                                ;   in Loop: Header=BB42_8 Depth=1
	v_mov_b32_e32 v12, s14
	s_mov_b64 s[26:27], 0
	v_mov_b32_e32 v13, s15
	s_branch .LBB42_12
.LBB42_10:                              ;   in Loop: Header=BB42_12 Depth=2
	s_or_b64 exec, exec, s[8:9]
.LBB42_11:                              ;   in Loop: Header=BB42_12 Depth=2
	s_or_b64 exec, exec, s[28:29]
	s_add_u32 s26, s26, 1
	s_addc_u32 s27, s27, 0
	s_cmp_eq_u64 s[26:27], s[18:19]
	s_cbranch_scc1 .LBB42_7
.LBB42_12:                              ;   Parent Loop BB42_8 Depth=1
                                        ; =>  This Loop Header: Depth=2
                                        ;       Child Loop BB42_15 Depth 3
	s_lshl_b64 s[8:9], s[26:27], 3
	v_mov_b32_e32 v9, s9
	v_add_co_u32_e32 v14, vcc, s8, v2
	v_addc_co_u32_e32 v15, vcc, v3, v9, vcc
	v_add_co_u32_e32 v18, vcc, s8, v4
	v_addc_co_u32_e32 v19, vcc, v5, v9, vcc
	global_load_dwordx2 v[24:25], v[14:15], off
	global_load_dwordx2 v[16:17], v[18:19], off
	s_waitcnt vmcnt(0)
	v_cmp_lt_i64_e32 vcc, v[24:25], v[16:17]
	s_and_saveexec_b64 s[28:29], vcc
	s_cbranch_execz .LBB42_11
; %bb.13:                               ;   in Loop: Header=BB42_12 Depth=2
	v_lshlrev_b64 v[18:19], 3, v[24:25]
	s_waitcnt lgkmcnt(0)
	v_mov_b32_e32 v9, s21
	v_add_co_u32_e32 v18, vcc, s20, v18
	v_addc_co_u32_e32 v19, vcc, v9, v19, vcc
	s_mov_b64 s[30:31], 0
                                        ; implicit-def: $sgpr34_sgpr35
                                        ; implicit-def: $sgpr36_sgpr37
	s_branch .LBB42_15
.LBB42_14:                              ;   in Loop: Header=BB42_15 Depth=3
	s_or_b64 exec, exec, s[8:9]
	s_and_b64 s[8:9], exec, s[38:39]
	s_or_b64 s[30:31], s[8:9], s[30:31]
	s_andn2_b64 s[8:9], s[34:35], exec
	s_and_b64 s[34:35], s[36:37], exec
	s_or_b64 s[34:35], s[8:9], s[34:35]
	s_andn2_b64 exec, exec, s[30:31]
	s_cbranch_execz .LBB42_21
.LBB42_15:                              ;   Parent Loop BB42_8 Depth=1
                                        ;     Parent Loop BB42_12 Depth=2
                                        ; =>    This Inner Loop Header: Depth=3
	global_load_dwordx2 v[20:21], v[18:19], off
                                        ; implicit-def: $vgpr22_vgpr23
	s_waitcnt vmcnt(0)
	v_subrev_co_u32_e32 v26, vcc, s33, v20
	v_subbrev_co_u32_e32 v27, vcc, 0, v21, vcc
	v_or_b32_e32 v9, s17, v27
	v_cmp_ne_u64_e32 vcc, 0, v[8:9]
	v_mov_b32_e32 v20, v24
	v_mov_b32_e32 v21, v25
	s_and_saveexec_b64 s[8:9], vcc
	s_xor_b64 s[38:39], exec, s[8:9]
	s_cbranch_execz .LBB42_17
; %bb.16:                               ;   in Loop: Header=BB42_15 Depth=3
	s_add_u32 s8, s16, s24
	s_mov_b32 s25, s24
	s_addc_u32 s9, s17, s24
	s_xor_b64 s[40:41], s[8:9], s[24:25]
	v_cvt_f32_u32_e32 v9, s40
	v_cvt_f32_u32_e32 v22, s41
	s_sub_u32 s25, 0, s40
	s_subb_u32 s42, 0, s41
	v_mac_f32_e32 v9, 0x4f800000, v22
	v_rcp_f32_e32 v9, v9
	v_mul_f32_e32 v9, 0x5f7ffffc, v9
	v_mul_f32_e32 v22, 0x2f800000, v9
	v_trunc_f32_e32 v22, v22
	v_mac_f32_e32 v9, 0xcf800000, v22
	v_cvt_u32_f32_e32 v22, v22
	v_cvt_u32_f32_e32 v9, v9
	v_readfirstlane_b32 s43, v22
	v_readfirstlane_b32 s8, v9
	s_mul_i32 s9, s25, s43
	s_mul_hi_u32 s45, s25, s8
	s_mul_i32 s44, s42, s8
	s_add_i32 s9, s45, s9
	s_add_i32 s9, s9, s44
	s_mul_i32 s46, s25, s8
	s_mul_i32 s45, s8, s9
	s_mul_hi_u32 s47, s8, s46
	s_mul_hi_u32 s44, s8, s9
	s_add_u32 s45, s47, s45
	s_addc_u32 s44, 0, s44
	s_mul_hi_u32 s48, s43, s46
	s_mul_i32 s46, s43, s46
	s_add_u32 s45, s45, s46
	s_mul_hi_u32 s47, s43, s9
	s_addc_u32 s44, s44, s48
	s_addc_u32 s45, s47, 0
	s_mul_i32 s9, s43, s9
	s_add_u32 s9, s44, s9
	s_addc_u32 s44, 0, s45
	s_add_u32 s45, s8, s9
	s_cselect_b64 s[8:9], -1, 0
	s_cmp_lg_u64 s[8:9], 0
	s_addc_u32 s43, s43, s44
	s_mul_i32 s8, s25, s43
	s_mul_hi_u32 s9, s25, s45
	s_add_i32 s8, s9, s8
	s_mul_i32 s42, s42, s45
	s_add_i32 s8, s8, s42
	s_mul_i32 s25, s25, s45
	s_mul_hi_u32 s42, s43, s25
	s_mul_i32 s44, s43, s25
	s_mul_i32 s47, s45, s8
	s_mul_hi_u32 s25, s45, s25
	s_mul_hi_u32 s46, s45, s8
	s_add_u32 s25, s25, s47
	s_addc_u32 s46, 0, s46
	s_add_u32 s25, s25, s44
	s_mul_hi_u32 s9, s43, s8
	s_addc_u32 s25, s46, s42
	s_addc_u32 s9, s9, 0
	s_mul_i32 s8, s43, s8
	s_add_u32 s8, s25, s8
	s_addc_u32 s25, 0, s9
	s_add_u32 s42, s45, s8
	s_cselect_b64 s[8:9], -1, 0
	v_ashrrev_i32_e32 v9, 31, v27
	s_cmp_lg_u64 s[8:9], 0
	v_add_co_u32_e32 v22, vcc, v26, v9
	s_addc_u32 s25, s43, s25
	v_xor_b32_e32 v26, v22, v9
	v_mad_u64_u32 v[22:23], s[8:9], v26, s25, 0
	v_mul_hi_u32 v25, v26, s42
	v_addc_co_u32_e32 v24, vcc, v27, v9, vcc
	v_xor_b32_e32 v27, v24, v9
	v_add_co_u32_e32 v28, vcc, v25, v22
	v_addc_co_u32_e32 v29, vcc, 0, v23, vcc
	v_mad_u64_u32 v[22:23], s[8:9], v27, s42, 0
	v_mad_u64_u32 v[24:25], s[8:9], v27, s25, 0
	v_add_co_u32_e32 v22, vcc, v28, v22
	v_addc_co_u32_e32 v22, vcc, v29, v23, vcc
	v_addc_co_u32_e32 v23, vcc, 0, v25, vcc
	v_add_co_u32_e32 v24, vcc, v22, v24
	v_addc_co_u32_e32 v25, vcc, 0, v23, vcc
	v_mul_lo_u32 v28, s41, v24
	v_mul_lo_u32 v29, s40, v25
	v_mad_u64_u32 v[22:23], s[8:9], s40, v24, 0
	v_xor_b32_e32 v9, s24, v9
	v_add3_u32 v23, v23, v29, v28
	v_sub_u32_e32 v28, v27, v23
	v_mov_b32_e32 v29, s41
	v_sub_co_u32_e32 v22, vcc, v26, v22
	v_subb_co_u32_e64 v26, s[8:9], v28, v29, vcc
	v_subrev_co_u32_e64 v28, s[8:9], s40, v22
	v_subbrev_co_u32_e64 v26, s[8:9], 0, v26, s[8:9]
	v_cmp_le_u32_e64 s[8:9], s41, v26
	v_cndmask_b32_e64 v29, 0, -1, s[8:9]
	v_cmp_le_u32_e64 s[8:9], s40, v28
	v_cndmask_b32_e64 v28, 0, -1, s[8:9]
	v_cmp_eq_u32_e64 s[8:9], s41, v26
	v_cndmask_b32_e64 v26, v29, v28, s[8:9]
	v_add_co_u32_e64 v28, s[8:9], 2, v24
	v_subb_co_u32_e32 v23, vcc, v27, v23, vcc
	v_addc_co_u32_e64 v29, s[8:9], 0, v25, s[8:9]
	v_cmp_le_u32_e32 vcc, s41, v23
	v_add_co_u32_e64 v30, s[8:9], 1, v24
	v_cndmask_b32_e64 v27, 0, -1, vcc
	v_cmp_le_u32_e32 vcc, s40, v22
	v_addc_co_u32_e64 v31, s[8:9], 0, v25, s[8:9]
	v_cndmask_b32_e64 v22, 0, -1, vcc
	v_cmp_eq_u32_e32 vcc, s41, v23
	v_cmp_ne_u32_e64 s[8:9], 0, v26
	v_cndmask_b32_e32 v22, v27, v22, vcc
	v_cndmask_b32_e64 v26, v31, v29, s[8:9]
	v_cmp_ne_u32_e32 vcc, 0, v22
	v_cndmask_b32_e64 v23, v30, v28, s[8:9]
	v_cndmask_b32_e32 v22, v25, v26, vcc
	v_cndmask_b32_e32 v23, v24, v23, vcc
	v_xor_b32_e32 v24, v22, v9
	v_xor_b32_e32 v22, v23, v9
	v_sub_co_u32_e32 v22, vcc, v22, v9
	v_subb_co_u32_e32 v23, vcc, v24, v9, vcc
                                        ; implicit-def: $vgpr26
.LBB42_17:                              ;   in Loop: Header=BB42_15 Depth=3
	s_andn2_saveexec_b64 s[8:9], s[38:39]
	s_cbranch_execz .LBB42_19
; %bb.18:                               ;   in Loop: Header=BB42_15 Depth=3
	v_cvt_f32_u32_e32 v9, s16
	s_sub_i32 s25, 0, s16
	v_rcp_iflag_f32_e32 v9, v9
	v_mul_f32_e32 v9, 0x4f7ffffe, v9
	v_cvt_u32_f32_e32 v9, v9
	v_mul_lo_u32 v22, s25, v9
	v_mul_hi_u32 v22, v9, v22
	v_add_u32_e32 v9, v9, v22
	v_mul_hi_u32 v9, v26, v9
	v_mul_lo_u32 v22, v9, s16
	v_add_u32_e32 v23, 1, v9
	v_sub_u32_e32 v22, v26, v22
	v_subrev_u32_e32 v24, s16, v22
	v_cmp_le_u32_e32 vcc, s16, v22
	v_cndmask_b32_e32 v22, v22, v24, vcc
	v_cndmask_b32_e32 v9, v9, v23, vcc
	v_add_u32_e32 v23, 1, v9
	v_cmp_le_u32_e32 vcc, s16, v22
	v_cndmask_b32_e32 v22, v9, v23, vcc
	v_mov_b32_e32 v23, v8
.LBB42_19:                              ;   in Loop: Header=BB42_15 Depth=3
	s_or_b64 exec, exec, s[8:9]
	v_cmp_lt_i64_e32 vcc, v[22:23], v[10:11]
	s_mov_b64 s[38:39], -1
	s_or_b64 s[36:37], s[36:37], exec
                                        ; implicit-def: $vgpr24_vgpr25
	s_and_saveexec_b64 s[8:9], vcc
	s_cbranch_execz .LBB42_14
; %bb.20:                               ;   in Loop: Header=BB42_15 Depth=3
	v_add_co_u32_e32 v24, vcc, 1, v20
	v_addc_co_u32_e32 v25, vcc, 0, v21, vcc
	v_add_co_u32_e32 v18, vcc, 8, v18
	v_addc_co_u32_e32 v19, vcc, 0, v19, vcc
	v_cmp_ge_i64_e32 vcc, v[24:25], v[16:17]
	s_andn2_b64 s[36:37], s[36:37], exec
	s_orn2_b64 s[38:39], vcc, exec
	s_branch .LBB42_14
.LBB42_21:                              ;   in Loop: Header=BB42_12 Depth=2
	s_or_b64 exec, exec, s[30:31]
	s_and_saveexec_b64 s[8:9], s[34:35]
	s_xor_b64 s[8:9], exec, s[8:9]
	s_cbranch_execz .LBB42_10
; %bb.22:                               ;   in Loop: Header=BB42_12 Depth=2
	v_cmp_lt_i64_e32 vcc, v[22:23], v[12:13]
	global_store_dwordx2 v[14:15], v[20:21], off
	v_cndmask_b32_e32 v13, v13, v23, vcc
	v_cndmask_b32_e32 v12, v12, v22, vcc
	s_branch .LBB42_10
.LBB42_23:
	s_or_b64 exec, exec, s[22:23]
	s_branch .LBB42_25
.LBB42_24:
	v_mov_b32_e32 v6, 0
	v_mov_b32_e32 v7, 0
.LBB42_25:
	v_mov_b32_e32 v1, s6
	v_mov_b32_e32 v2, s7
	v_cmp_gt_i64_e32 vcc, s[12:13], v[1:2]
	v_cmp_eq_u32_e64 s[0:1], 31, v0
	s_and_b64 s[0:1], s[0:1], vcc
	s_and_saveexec_b64 s[2:3], s[0:1]
	s_cbranch_execz .LBB42_27
; %bb.26:
	s_load_dword s2, s[4:5], 0x48
	s_lshl_b64 s[0:1], s[6:7], 3
	v_mov_b32_e32 v1, 0
	s_waitcnt lgkmcnt(0)
	s_add_u32 s0, s10, s0
	s_addc_u32 s1, s11, s1
	v_mov_b32_e32 v0, s2
	global_store_dwordx2 v1, v[0:1], s[10:11]
	global_store_dwordx2 v1, v[6:7], s[0:1] offset:8
.LBB42_27:
	s_endpgm
	.section	.rodata,"a",@progbits
	.p2align	6, 0x0
	.amdhsa_kernel _ZN9rocsparseL25csr2bsr_nnz_65_inf_kernelILj32EllEEvT1_S1_S1_S1_S1_S1_21rocsparse_index_base_PKT0_PKS1_S2_PS3_S8_
		.amdhsa_group_segment_fixed_size 0
		.amdhsa_private_segment_fixed_size 0
		.amdhsa_kernarg_size 96
		.amdhsa_user_sgpr_count 6
		.amdhsa_user_sgpr_private_segment_buffer 1
		.amdhsa_user_sgpr_dispatch_ptr 0
		.amdhsa_user_sgpr_queue_ptr 0
		.amdhsa_user_sgpr_kernarg_segment_ptr 1
		.amdhsa_user_sgpr_dispatch_id 0
		.amdhsa_user_sgpr_flat_scratch_init 0
		.amdhsa_user_sgpr_private_segment_size 0
		.amdhsa_uses_dynamic_stack 0
		.amdhsa_system_sgpr_private_segment_wavefront_offset 0
		.amdhsa_system_sgpr_workgroup_id_x 1
		.amdhsa_system_sgpr_workgroup_id_y 0
		.amdhsa_system_sgpr_workgroup_id_z 0
		.amdhsa_system_sgpr_workgroup_info 0
		.amdhsa_system_vgpr_workitem_id 0
		.amdhsa_next_free_vgpr 32
		.amdhsa_next_free_sgpr 49
		.amdhsa_reserve_vcc 1
		.amdhsa_reserve_flat_scratch 0
		.amdhsa_float_round_mode_32 0
		.amdhsa_float_round_mode_16_64 0
		.amdhsa_float_denorm_mode_32 3
		.amdhsa_float_denorm_mode_16_64 3
		.amdhsa_dx10_clamp 1
		.amdhsa_ieee_mode 1
		.amdhsa_fp16_overflow 0
		.amdhsa_exception_fp_ieee_invalid_op 0
		.amdhsa_exception_fp_denorm_src 0
		.amdhsa_exception_fp_ieee_div_zero 0
		.amdhsa_exception_fp_ieee_overflow 0
		.amdhsa_exception_fp_ieee_underflow 0
		.amdhsa_exception_fp_ieee_inexact 0
		.amdhsa_exception_int_div_zero 0
	.end_amdhsa_kernel
	.section	.text._ZN9rocsparseL25csr2bsr_nnz_65_inf_kernelILj32EllEEvT1_S1_S1_S1_S1_S1_21rocsparse_index_base_PKT0_PKS1_S2_PS3_S8_,"axG",@progbits,_ZN9rocsparseL25csr2bsr_nnz_65_inf_kernelILj32EllEEvT1_S1_S1_S1_S1_S1_21rocsparse_index_base_PKT0_PKS1_S2_PS3_S8_,comdat
.Lfunc_end42:
	.size	_ZN9rocsparseL25csr2bsr_nnz_65_inf_kernelILj32EllEEvT1_S1_S1_S1_S1_S1_21rocsparse_index_base_PKT0_PKS1_S2_PS3_S8_, .Lfunc_end42-_ZN9rocsparseL25csr2bsr_nnz_65_inf_kernelILj32EllEEvT1_S1_S1_S1_S1_S1_21rocsparse_index_base_PKT0_PKS1_S2_PS3_S8_
                                        ; -- End function
	.set _ZN9rocsparseL25csr2bsr_nnz_65_inf_kernelILj32EllEEvT1_S1_S1_S1_S1_S1_21rocsparse_index_base_PKT0_PKS1_S2_PS3_S8_.num_vgpr, 32
	.set _ZN9rocsparseL25csr2bsr_nnz_65_inf_kernelILj32EllEEvT1_S1_S1_S1_S1_S1_21rocsparse_index_base_PKT0_PKS1_S2_PS3_S8_.num_agpr, 0
	.set _ZN9rocsparseL25csr2bsr_nnz_65_inf_kernelILj32EllEEvT1_S1_S1_S1_S1_S1_21rocsparse_index_base_PKT0_PKS1_S2_PS3_S8_.numbered_sgpr, 49
	.set _ZN9rocsparseL25csr2bsr_nnz_65_inf_kernelILj32EllEEvT1_S1_S1_S1_S1_S1_21rocsparse_index_base_PKT0_PKS1_S2_PS3_S8_.num_named_barrier, 0
	.set _ZN9rocsparseL25csr2bsr_nnz_65_inf_kernelILj32EllEEvT1_S1_S1_S1_S1_S1_21rocsparse_index_base_PKT0_PKS1_S2_PS3_S8_.private_seg_size, 0
	.set _ZN9rocsparseL25csr2bsr_nnz_65_inf_kernelILj32EllEEvT1_S1_S1_S1_S1_S1_21rocsparse_index_base_PKT0_PKS1_S2_PS3_S8_.uses_vcc, 1
	.set _ZN9rocsparseL25csr2bsr_nnz_65_inf_kernelILj32EllEEvT1_S1_S1_S1_S1_S1_21rocsparse_index_base_PKT0_PKS1_S2_PS3_S8_.uses_flat_scratch, 0
	.set _ZN9rocsparseL25csr2bsr_nnz_65_inf_kernelILj32EllEEvT1_S1_S1_S1_S1_S1_21rocsparse_index_base_PKT0_PKS1_S2_PS3_S8_.has_dyn_sized_stack, 0
	.set _ZN9rocsparseL25csr2bsr_nnz_65_inf_kernelILj32EllEEvT1_S1_S1_S1_S1_S1_21rocsparse_index_base_PKT0_PKS1_S2_PS3_S8_.has_recursion, 0
	.set _ZN9rocsparseL25csr2bsr_nnz_65_inf_kernelILj32EllEEvT1_S1_S1_S1_S1_S1_21rocsparse_index_base_PKT0_PKS1_S2_PS3_S8_.has_indirect_call, 0
	.section	.AMDGPU.csdata,"",@progbits
; Kernel info:
; codeLenInByte = 1904
; TotalNumSgprs: 53
; NumVgprs: 32
; ScratchSize: 0
; MemoryBound: 0
; FloatMode: 240
; IeeeMode: 1
; LDSByteSize: 0 bytes/workgroup (compile time only)
; SGPRBlocks: 6
; VGPRBlocks: 7
; NumSGPRsForWavesPerEU: 53
; NumVGPRsForWavesPerEU: 32
; Occupancy: 8
; WaveLimiterHint : 0
; COMPUTE_PGM_RSRC2:SCRATCH_EN: 0
; COMPUTE_PGM_RSRC2:USER_SGPR: 6
; COMPUTE_PGM_RSRC2:TRAP_HANDLER: 0
; COMPUTE_PGM_RSRC2:TGID_X_EN: 1
; COMPUTE_PGM_RSRC2:TGID_Y_EN: 0
; COMPUTE_PGM_RSRC2:TGID_Z_EN: 0
; COMPUTE_PGM_RSRC2:TIDIG_COMP_CNT: 0
	.section	.text._ZN9rocsparseL36csr2bsr_nnz_compute_nnz_total_kernelILj1EllEEvT1_PKT0_PS2_,"axG",@progbits,_ZN9rocsparseL36csr2bsr_nnz_compute_nnz_total_kernelILj1EllEEvT1_PKT0_PS2_,comdat
	.globl	_ZN9rocsparseL36csr2bsr_nnz_compute_nnz_total_kernelILj1EllEEvT1_PKT0_PS2_ ; -- Begin function _ZN9rocsparseL36csr2bsr_nnz_compute_nnz_total_kernelILj1EllEEvT1_PKT0_PS2_
	.p2align	8
	.type	_ZN9rocsparseL36csr2bsr_nnz_compute_nnz_total_kernelILj1EllEEvT1_PKT0_PS2_,@function
_ZN9rocsparseL36csr2bsr_nnz_compute_nnz_total_kernelILj1EllEEvT1_PKT0_PS2_: ; @_ZN9rocsparseL36csr2bsr_nnz_compute_nnz_total_kernelILj1EllEEvT1_PKT0_PS2_
; %bb.0:
	s_sub_i32 s0, 0, s6
	s_cmp_lg_u32 s0, 0
	s_cbranch_scc1 .LBB43_2
; %bb.1:
	s_load_dwordx4 s[0:3], s[4:5], 0x0
	s_load_dwordx2 s[6:7], s[4:5], 0x10
	v_mov_b32_e32 v2, 0
	s_waitcnt lgkmcnt(0)
	s_lshl_b64 s[0:1], s[0:1], 3
	s_add_u32 s0, s2, s0
	s_addc_u32 s1, s3, s1
	s_load_dwordx2 s[4:5], s[0:1], 0x0
	s_load_dwordx2 s[8:9], s[2:3], 0x0
	s_waitcnt lgkmcnt(0)
	s_sub_u32 s0, s4, s8
	s_subb_u32 s1, s5, s9
	v_mov_b32_e32 v0, s0
	v_mov_b32_e32 v1, s1
	global_store_dwordx2 v2, v[0:1], s[6:7]
.LBB43_2:
	s_endpgm
	.section	.rodata,"a",@progbits
	.p2align	6, 0x0
	.amdhsa_kernel _ZN9rocsparseL36csr2bsr_nnz_compute_nnz_total_kernelILj1EllEEvT1_PKT0_PS2_
		.amdhsa_group_segment_fixed_size 0
		.amdhsa_private_segment_fixed_size 0
		.amdhsa_kernarg_size 24
		.amdhsa_user_sgpr_count 6
		.amdhsa_user_sgpr_private_segment_buffer 1
		.amdhsa_user_sgpr_dispatch_ptr 0
		.amdhsa_user_sgpr_queue_ptr 0
		.amdhsa_user_sgpr_kernarg_segment_ptr 1
		.amdhsa_user_sgpr_dispatch_id 0
		.amdhsa_user_sgpr_flat_scratch_init 0
		.amdhsa_user_sgpr_private_segment_size 0
		.amdhsa_uses_dynamic_stack 0
		.amdhsa_system_sgpr_private_segment_wavefront_offset 0
		.amdhsa_system_sgpr_workgroup_id_x 1
		.amdhsa_system_sgpr_workgroup_id_y 0
		.amdhsa_system_sgpr_workgroup_id_z 0
		.amdhsa_system_sgpr_workgroup_info 0
		.amdhsa_system_vgpr_workitem_id 0
		.amdhsa_next_free_vgpr 3
		.amdhsa_next_free_sgpr 10
		.amdhsa_reserve_vcc 0
		.amdhsa_reserve_flat_scratch 0
		.amdhsa_float_round_mode_32 0
		.amdhsa_float_round_mode_16_64 0
		.amdhsa_float_denorm_mode_32 3
		.amdhsa_float_denorm_mode_16_64 3
		.amdhsa_dx10_clamp 1
		.amdhsa_ieee_mode 1
		.amdhsa_fp16_overflow 0
		.amdhsa_exception_fp_ieee_invalid_op 0
		.amdhsa_exception_fp_denorm_src 0
		.amdhsa_exception_fp_ieee_div_zero 0
		.amdhsa_exception_fp_ieee_overflow 0
		.amdhsa_exception_fp_ieee_underflow 0
		.amdhsa_exception_fp_ieee_inexact 0
		.amdhsa_exception_int_div_zero 0
	.end_amdhsa_kernel
	.section	.text._ZN9rocsparseL36csr2bsr_nnz_compute_nnz_total_kernelILj1EllEEvT1_PKT0_PS2_,"axG",@progbits,_ZN9rocsparseL36csr2bsr_nnz_compute_nnz_total_kernelILj1EllEEvT1_PKT0_PS2_,comdat
.Lfunc_end43:
	.size	_ZN9rocsparseL36csr2bsr_nnz_compute_nnz_total_kernelILj1EllEEvT1_PKT0_PS2_, .Lfunc_end43-_ZN9rocsparseL36csr2bsr_nnz_compute_nnz_total_kernelILj1EllEEvT1_PKT0_PS2_
                                        ; -- End function
	.set _ZN9rocsparseL36csr2bsr_nnz_compute_nnz_total_kernelILj1EllEEvT1_PKT0_PS2_.num_vgpr, 3
	.set _ZN9rocsparseL36csr2bsr_nnz_compute_nnz_total_kernelILj1EllEEvT1_PKT0_PS2_.num_agpr, 0
	.set _ZN9rocsparseL36csr2bsr_nnz_compute_nnz_total_kernelILj1EllEEvT1_PKT0_PS2_.numbered_sgpr, 10
	.set _ZN9rocsparseL36csr2bsr_nnz_compute_nnz_total_kernelILj1EllEEvT1_PKT0_PS2_.num_named_barrier, 0
	.set _ZN9rocsparseL36csr2bsr_nnz_compute_nnz_total_kernelILj1EllEEvT1_PKT0_PS2_.private_seg_size, 0
	.set _ZN9rocsparseL36csr2bsr_nnz_compute_nnz_total_kernelILj1EllEEvT1_PKT0_PS2_.uses_vcc, 0
	.set _ZN9rocsparseL36csr2bsr_nnz_compute_nnz_total_kernelILj1EllEEvT1_PKT0_PS2_.uses_flat_scratch, 0
	.set _ZN9rocsparseL36csr2bsr_nnz_compute_nnz_total_kernelILj1EllEEvT1_PKT0_PS2_.has_dyn_sized_stack, 0
	.set _ZN9rocsparseL36csr2bsr_nnz_compute_nnz_total_kernelILj1EllEEvT1_PKT0_PS2_.has_recursion, 0
	.set _ZN9rocsparseL36csr2bsr_nnz_compute_nnz_total_kernelILj1EllEEvT1_PKT0_PS2_.has_indirect_call, 0
	.section	.AMDGPU.csdata,"",@progbits
; Kernel info:
; codeLenInByte = 96
; TotalNumSgprs: 14
; NumVgprs: 3
; ScratchSize: 0
; MemoryBound: 0
; FloatMode: 240
; IeeeMode: 1
; LDSByteSize: 0 bytes/workgroup (compile time only)
; SGPRBlocks: 1
; VGPRBlocks: 0
; NumSGPRsForWavesPerEU: 14
; NumVGPRsForWavesPerEU: 3
; Occupancy: 10
; WaveLimiterHint : 0
; COMPUTE_PGM_RSRC2:SCRATCH_EN: 0
; COMPUTE_PGM_RSRC2:USER_SGPR: 6
; COMPUTE_PGM_RSRC2:TRAP_HANDLER: 0
; COMPUTE_PGM_RSRC2:TGID_X_EN: 1
; COMPUTE_PGM_RSRC2:TGID_Y_EN: 0
; COMPUTE_PGM_RSRC2:TGID_Z_EN: 0
; COMPUTE_PGM_RSRC2:TIDIG_COMP_CNT: 0
	.section	.AMDGPU.gpr_maximums,"",@progbits
	.set amdgpu.max_num_vgpr, 0
	.set amdgpu.max_num_agpr, 0
	.set amdgpu.max_num_sgpr, 0
	.section	.AMDGPU.csdata,"",@progbits
	.type	__hip_cuid_38fb6ae85373e37b,@object ; @__hip_cuid_38fb6ae85373e37b
	.section	.bss,"aw",@nobits
	.globl	__hip_cuid_38fb6ae85373e37b
__hip_cuid_38fb6ae85373e37b:
	.byte	0                               ; 0x0
	.size	__hip_cuid_38fb6ae85373e37b, 1

	.ident	"AMD clang version 22.0.0git (https://github.com/RadeonOpenCompute/llvm-project roc-7.2.4 26084 f58b06dce1f9c15707c5f808fd002e18c2accf7e)"
	.section	".note.GNU-stack","",@progbits
	.addrsig
	.addrsig_sym __hip_cuid_38fb6ae85373e37b
	.amdgpu_metadata
---
amdhsa.kernels:
  - .args:
      - .offset:         0
        .size:           4
        .value_kind:     by_value
      - .offset:         4
        .size:           4
        .value_kind:     by_value
      - .actual_access:  read_only
        .address_space:  global
        .offset:         8
        .size:           8
        .value_kind:     global_buffer
      - .offset:         16
        .size:           4
        .value_kind:     by_value
      - .actual_access:  write_only
        .address_space:  global
        .offset:         24
        .size:           8
        .value_kind:     global_buffer
      - .actual_access:  write_only
        .address_space:  global
        .offset:         32
        .size:           8
        .value_kind:     global_buffer
      - .offset:         40
        .size:           4
        .value_kind:     hidden_block_count_x
      - .offset:         44
        .size:           4
        .value_kind:     hidden_block_count_y
      - .offset:         48
        .size:           4
        .value_kind:     hidden_block_count_z
      - .offset:         52
        .size:           2
        .value_kind:     hidden_group_size_x
      - .offset:         54
        .size:           2
        .value_kind:     hidden_group_size_y
      - .offset:         56
        .size:           2
        .value_kind:     hidden_group_size_z
      - .offset:         58
        .size:           2
        .value_kind:     hidden_remainder_x
      - .offset:         60
        .size:           2
        .value_kind:     hidden_remainder_y
      - .offset:         62
        .size:           2
        .value_kind:     hidden_remainder_z
      - .offset:         80
        .size:           8
        .value_kind:     hidden_global_offset_x
      - .offset:         88
        .size:           8
        .value_kind:     hidden_global_offset_y
      - .offset:         96
        .size:           8
        .value_kind:     hidden_global_offset_z
      - .offset:         104
        .size:           2
        .value_kind:     hidden_grid_dims
    .group_segment_fixed_size: 0
    .kernarg_segment_align: 8
    .kernarg_segment_size: 296
    .language:       OpenCL C
    .language_version:
      - 2
      - 0
    .max_flat_workgroup_size: 256
    .name:           _ZN9rocsparseL39csr2bsr_nnz_block_dim_equals_one_kernelILj256EiiEEvT1_21rocsparse_index_base_PKT0_S2_PS3_S6_
    .private_segment_fixed_size: 0
    .sgpr_count:     15
    .sgpr_spill_count: 0
    .symbol:         _ZN9rocsparseL39csr2bsr_nnz_block_dim_equals_one_kernelILj256EiiEEvT1_21rocsparse_index_base_PKT0_S2_PS3_S6_.kd
    .uniform_work_group_size: 1
    .uses_dynamic_stack: false
    .vgpr_count:     5
    .vgpr_spill_count: 0
    .wavefront_size: 64
  - .args:
      - .offset:         0
        .size:           4
        .value_kind:     by_value
      - .offset:         4
        .size:           4
        .value_kind:     by_value
      - .actual_access:  read_only
        .address_space:  global
        .offset:         8
        .size:           8
        .value_kind:     global_buffer
      - .offset:         16
        .size:           4
        .value_kind:     by_value
      - .actual_access:  write_only
        .address_space:  global
        .offset:         24
        .size:           8
        .value_kind:     global_buffer
    .group_segment_fixed_size: 0
    .kernarg_segment_align: 8
    .kernarg_segment_size: 32
    .language:       OpenCL C
    .language_version:
      - 2
      - 0
    .max_flat_workgroup_size: 256
    .name:           _ZN9rocsparseL39csr2bsr_nnz_block_dim_equals_one_kernelILj256EiiEEvT1_21rocsparse_index_base_PKT0_S2_PS3_
    .private_segment_fixed_size: 0
    .sgpr_count:     11
    .sgpr_spill_count: 0
    .symbol:         _ZN9rocsparseL39csr2bsr_nnz_block_dim_equals_one_kernelILj256EiiEEvT1_21rocsparse_index_base_PKT0_S2_PS3_.kd
    .uniform_work_group_size: 1
    .uses_dynamic_stack: false
    .vgpr_count:     4
    .vgpr_spill_count: 0
    .wavefront_size: 64
  - .args:
      - .offset:         0
        .size:           4
        .value_kind:     by_value
      - .offset:         4
        .size:           4
        .value_kind:     by_value
      - .offset:         8
        .size:           4
        .value_kind:     by_value
      - .offset:         12
        .size:           4
        .value_kind:     by_value
      - .offset:         16
        .size:           4
        .value_kind:     by_value
      - .offset:         20
        .size:           4
        .value_kind:     by_value
      - .actual_access:  read_only
        .address_space:  global
        .offset:         24
        .size:           8
        .value_kind:     global_buffer
      - .actual_access:  read_only
        .address_space:  global
        .offset:         32
        .size:           8
        .value_kind:     global_buffer
      - .offset:         40
        .size:           4
        .value_kind:     by_value
      - .actual_access:  write_only
        .address_space:  global
        .offset:         48
        .size:           8
        .value_kind:     global_buffer
    .group_segment_fixed_size: 80
    .kernarg_segment_align: 8
    .kernarg_segment_size: 56
    .language:       OpenCL C
    .language_version:
      - 2
      - 0
    .max_flat_workgroup_size: 256
    .name:           _ZN9rocsparseL46csr2bsr_nnz_wavefront_per_row_multipass_kernelILj256ELj16ELj4EiiEEvT3_S1_S1_S1_S1_21rocsparse_index_base_PKT2_PKS1_S2_PS3_
    .private_segment_fixed_size: 0
    .sgpr_count:     26
    .sgpr_spill_count: 0
    .symbol:         _ZN9rocsparseL46csr2bsr_nnz_wavefront_per_row_multipass_kernelILj256ELj16ELj4EiiEEvT3_S1_S1_S1_S1_21rocsparse_index_base_PKT2_PKS1_S2_PS3_.kd
    .uniform_work_group_size: 1
    .uses_dynamic_stack: false
    .vgpr_count:     20
    .vgpr_spill_count: 0
    .wavefront_size: 64
  - .args:
      - .offset:         0
        .size:           4
        .value_kind:     by_value
      - .offset:         4
        .size:           4
        .value_kind:     by_value
      - .offset:         8
        .size:           4
        .value_kind:     by_value
      - .offset:         12
        .size:           4
        .value_kind:     by_value
      - .offset:         16
        .size:           4
        .value_kind:     by_value
      - .offset:         20
        .size:           4
        .value_kind:     by_value
      - .actual_access:  read_only
        .address_space:  global
        .offset:         24
        .size:           8
        .value_kind:     global_buffer
      - .actual_access:  read_only
        .address_space:  global
        .offset:         32
        .size:           8
        .value_kind:     global_buffer
      - .offset:         40
        .size:           4
        .value_kind:     by_value
      - .actual_access:  write_only
        .address_space:  global
        .offset:         48
        .size:           8
        .value_kind:     global_buffer
    .group_segment_fixed_size: 20
    .kernarg_segment_align: 8
    .kernarg_segment_size: 56
    .language:       OpenCL C
    .language_version:
      - 2
      - 0
    .max_flat_workgroup_size: 256
    .name:           _ZN9rocsparseL46csr2bsr_nnz_wavefront_per_row_multipass_kernelILj256ELj64ELj8EiiEEvT3_S1_S1_S1_S1_21rocsparse_index_base_PKT2_PKS1_S2_PS3_
    .private_segment_fixed_size: 0
    .sgpr_count:     26
    .sgpr_spill_count: 0
    .symbol:         _ZN9rocsparseL46csr2bsr_nnz_wavefront_per_row_multipass_kernelILj256ELj64ELj8EiiEEvT3_S1_S1_S1_S1_21rocsparse_index_base_PKT2_PKS1_S2_PS3_.kd
    .uniform_work_group_size: 1
    .uses_dynamic_stack: false
    .vgpr_count:     20
    .vgpr_spill_count: 0
    .wavefront_size: 64
  - .args:
      - .offset:         0
        .size:           4
        .value_kind:     by_value
      - .offset:         4
        .size:           4
        .value_kind:     by_value
      - .offset:         8
        .size:           4
        .value_kind:     by_value
      - .offset:         12
        .size:           4
        .value_kind:     by_value
      - .offset:         16
        .size:           4
        .value_kind:     by_value
      - .offset:         20
        .size:           4
        .value_kind:     by_value
      - .actual_access:  read_only
        .address_space:  global
        .offset:         24
        .size:           8
        .value_kind:     global_buffer
      - .actual_access:  read_only
        .address_space:  global
        .offset:         32
        .size:           8
        .value_kind:     global_buffer
      - .offset:         40
        .size:           4
        .value_kind:     by_value
      - .actual_access:  write_only
        .address_space:  global
        .offset:         48
        .size:           8
        .value_kind:     global_buffer
    .group_segment_fixed_size: 40
    .kernarg_segment_align: 8
    .kernarg_segment_size: 56
    .language:       OpenCL C
    .language_version:
      - 2
      - 0
    .max_flat_workgroup_size: 256
    .name:           _ZN9rocsparseL46csr2bsr_nnz_wavefront_per_row_multipass_kernelILj256ELj32ELj8EiiEEvT3_S1_S1_S1_S1_21rocsparse_index_base_PKT2_PKS1_S2_PS3_
    .private_segment_fixed_size: 0
    .sgpr_count:     26
    .sgpr_spill_count: 0
    .symbol:         _ZN9rocsparseL46csr2bsr_nnz_wavefront_per_row_multipass_kernelILj256ELj32ELj8EiiEEvT3_S1_S1_S1_S1_21rocsparse_index_base_PKT2_PKS1_S2_PS3_.kd
    .uniform_work_group_size: 1
    .uses_dynamic_stack: false
    .vgpr_count:     20
    .vgpr_spill_count: 0
    .wavefront_size: 64
  - .args:
      - .offset:         0
        .size:           4
        .value_kind:     by_value
      - .offset:         4
        .size:           4
        .value_kind:     by_value
      - .offset:         8
        .size:           4
        .value_kind:     by_value
      - .offset:         12
        .size:           4
        .value_kind:     by_value
      - .offset:         16
        .size:           4
        .value_kind:     by_value
      - .offset:         20
        .size:           4
        .value_kind:     by_value
      - .actual_access:  read_only
        .address_space:  global
        .offset:         24
        .size:           8
        .value_kind:     global_buffer
      - .actual_access:  read_only
        .address_space:  global
        .offset:         32
        .size:           8
        .value_kind:     global_buffer
      - .offset:         40
        .size:           4
        .value_kind:     by_value
      - .actual_access:  write_only
        .address_space:  global
        .offset:         48
        .size:           8
        .value_kind:     global_buffer
    .group_segment_fixed_size: 20
    .kernarg_segment_align: 8
    .kernarg_segment_size: 56
    .language:       OpenCL C
    .language_version:
      - 2
      - 0
    .max_flat_workgroup_size: 256
    .name:           _ZN9rocsparseL46csr2bsr_nnz_wavefront_per_row_multipass_kernelILj256ELj64ELj16EiiEEvT3_S1_S1_S1_S1_21rocsparse_index_base_PKT2_PKS1_S2_PS3_
    .private_segment_fixed_size: 0
    .sgpr_count:     26
    .sgpr_spill_count: 0
    .symbol:         _ZN9rocsparseL46csr2bsr_nnz_wavefront_per_row_multipass_kernelILj256ELj64ELj16EiiEEvT3_S1_S1_S1_S1_21rocsparse_index_base_PKT2_PKS1_S2_PS3_.kd
    .uniform_work_group_size: 1
    .uses_dynamic_stack: false
    .vgpr_count:     20
    .vgpr_spill_count: 0
    .wavefront_size: 64
  - .args:
      - .offset:         0
        .size:           4
        .value_kind:     by_value
      - .offset:         4
        .size:           4
        .value_kind:     by_value
      - .offset:         8
        .size:           4
        .value_kind:     by_value
      - .offset:         12
        .size:           4
        .value_kind:     by_value
      - .offset:         16
        .size:           4
        .value_kind:     by_value
      - .offset:         20
        .size:           4
        .value_kind:     by_value
      - .actual_access:  read_only
        .address_space:  global
        .offset:         24
        .size:           8
        .value_kind:     global_buffer
      - .actual_access:  read_only
        .address_space:  global
        .offset:         32
        .size:           8
        .value_kind:     global_buffer
      - .offset:         40
        .size:           4
        .value_kind:     by_value
      - .actual_access:  write_only
        .address_space:  global
        .offset:         48
        .size:           8
        .value_kind:     global_buffer
    .group_segment_fixed_size: 40
    .kernarg_segment_align: 8
    .kernarg_segment_size: 56
    .language:       OpenCL C
    .language_version:
      - 2
      - 0
    .max_flat_workgroup_size: 256
    .name:           _ZN9rocsparseL46csr2bsr_nnz_wavefront_per_row_multipass_kernelILj256ELj32ELj16EiiEEvT3_S1_S1_S1_S1_21rocsparse_index_base_PKT2_PKS1_S2_PS3_
    .private_segment_fixed_size: 0
    .sgpr_count:     26
    .sgpr_spill_count: 0
    .symbol:         _ZN9rocsparseL46csr2bsr_nnz_wavefront_per_row_multipass_kernelILj256ELj32ELj16EiiEEvT3_S1_S1_S1_S1_21rocsparse_index_base_PKT2_PKS1_S2_PS3_.kd
    .uniform_work_group_size: 1
    .uses_dynamic_stack: false
    .vgpr_count:     20
    .vgpr_spill_count: 0
    .wavefront_size: 64
  - .args:
      - .offset:         0
        .size:           4
        .value_kind:     by_value
      - .offset:         4
        .size:           4
        .value_kind:     by_value
      - .offset:         8
        .size:           4
        .value_kind:     by_value
      - .offset:         12
        .size:           4
        .value_kind:     by_value
      - .offset:         16
        .size:           4
        .value_kind:     by_value
      - .offset:         20
        .size:           4
        .value_kind:     by_value
      - .actual_access:  read_only
        .address_space:  global
        .offset:         24
        .size:           8
        .value_kind:     global_buffer
      - .actual_access:  read_only
        .address_space:  global
        .offset:         32
        .size:           8
        .value_kind:     global_buffer
      - .offset:         40
        .size:           4
        .value_kind:     by_value
      - .actual_access:  write_only
        .address_space:  global
        .offset:         48
        .size:           8
        .value_kind:     global_buffer
    .group_segment_fixed_size: 1032
    .kernarg_segment_align: 8
    .kernarg_segment_size: 56
    .language:       OpenCL C
    .language_version:
      - 2
      - 0
    .max_flat_workgroup_size: 256
    .name:           _ZN9rocsparseL42csr2bsr_nnz_block_per_row_multipass_kernelILj256ELj32EiiEEvT2_S1_S1_S1_S1_21rocsparse_index_base_PKT1_PKS1_S2_PS3_
    .private_segment_fixed_size: 0
    .sgpr_count:     40
    .sgpr_spill_count: 0
    .symbol:         _ZN9rocsparseL42csr2bsr_nnz_block_per_row_multipass_kernelILj256ELj32EiiEEvT2_S1_S1_S1_S1_21rocsparse_index_base_PKT1_PKS1_S2_PS3_.kd
    .uniform_work_group_size: 1
    .uses_dynamic_stack: false
    .vgpr_count:     17
    .vgpr_spill_count: 0
    .wavefront_size: 64
  - .args:
      - .offset:         0
        .size:           4
        .value_kind:     by_value
      - .offset:         4
        .size:           4
        .value_kind:     by_value
      - .offset:         8
        .size:           4
        .value_kind:     by_value
      - .offset:         12
        .size:           4
        .value_kind:     by_value
      - .offset:         16
        .size:           4
        .value_kind:     by_value
      - .offset:         20
        .size:           4
        .value_kind:     by_value
      - .actual_access:  read_only
        .address_space:  global
        .offset:         24
        .size:           8
        .value_kind:     global_buffer
      - .actual_access:  read_only
        .address_space:  global
        .offset:         32
        .size:           8
        .value_kind:     global_buffer
      - .offset:         40
        .size:           4
        .value_kind:     by_value
      - .actual_access:  write_only
        .address_space:  global
        .offset:         48
        .size:           8
        .value_kind:     global_buffer
    .group_segment_fixed_size: 1032
    .kernarg_segment_align: 8
    .kernarg_segment_size: 56
    .language:       OpenCL C
    .language_version:
      - 2
      - 0
    .max_flat_workgroup_size: 256
    .name:           _ZN9rocsparseL42csr2bsr_nnz_block_per_row_multipass_kernelILj256ELj64EiiEEvT2_S1_S1_S1_S1_21rocsparse_index_base_PKT1_PKS1_S2_PS3_
    .private_segment_fixed_size: 0
    .sgpr_count:     40
    .sgpr_spill_count: 0
    .symbol:         _ZN9rocsparseL42csr2bsr_nnz_block_per_row_multipass_kernelILj256ELj64EiiEEvT2_S1_S1_S1_S1_21rocsparse_index_base_PKT1_PKS1_S2_PS3_.kd
    .uniform_work_group_size: 1
    .uses_dynamic_stack: false
    .vgpr_count:     17
    .vgpr_spill_count: 0
    .wavefront_size: 64
  - .args:
      - .offset:         0
        .size:           4
        .value_kind:     by_value
      - .offset:         4
        .size:           4
        .value_kind:     by_value
      - .offset:         8
        .size:           4
        .value_kind:     by_value
      - .offset:         12
        .size:           4
        .value_kind:     by_value
      - .offset:         16
        .size:           4
        .value_kind:     by_value
      - .offset:         20
        .size:           4
        .value_kind:     by_value
      - .offset:         24
        .size:           4
        .value_kind:     by_value
      - .actual_access:  read_only
        .address_space:  global
        .offset:         32
        .size:           8
        .value_kind:     global_buffer
      - .actual_access:  read_only
        .address_space:  global
        .offset:         40
        .size:           8
        .value_kind:     global_buffer
      - .offset:         48
        .size:           4
        .value_kind:     by_value
      - .actual_access:  write_only
        .address_space:  global
        .offset:         56
        .size:           8
        .value_kind:     global_buffer
      - .address_space:  global
        .offset:         64
        .size:           8
        .value_kind:     global_buffer
    .group_segment_fixed_size: 0
    .kernarg_segment_align: 8
    .kernarg_segment_size: 72
    .language:       OpenCL C
    .language_version:
      - 2
      - 0
    .max_flat_workgroup_size: 32
    .name:           _ZN9rocsparseL25csr2bsr_nnz_65_inf_kernelILj32EiiEEvT1_S1_S1_S1_S1_S1_21rocsparse_index_base_PKT0_PKS1_S2_PS3_S8_
    .private_segment_fixed_size: 0
    .sgpr_count:     40
    .sgpr_spill_count: 0
    .symbol:         _ZN9rocsparseL25csr2bsr_nnz_65_inf_kernelILj32EiiEEvT1_S1_S1_S1_S1_S1_21rocsparse_index_base_PKT0_PKS1_S2_PS3_S8_.kd
    .uniform_work_group_size: 1
    .uses_dynamic_stack: false
    .vgpr_count:     21
    .vgpr_spill_count: 0
    .wavefront_size: 64
  - .args:
      - .offset:         0
        .size:           4
        .value_kind:     by_value
      - .actual_access:  read_only
        .address_space:  global
        .offset:         8
        .size:           8
        .value_kind:     global_buffer
      - .actual_access:  write_only
        .address_space:  global
        .offset:         16
        .size:           8
        .value_kind:     global_buffer
    .group_segment_fixed_size: 0
    .kernarg_segment_align: 8
    .kernarg_segment_size: 24
    .language:       OpenCL C
    .language_version:
      - 2
      - 0
    .max_flat_workgroup_size: 1
    .name:           _ZN9rocsparseL36csr2bsr_nnz_compute_nnz_total_kernelILj1EiiEEvT1_PKT0_PS2_
    .private_segment_fixed_size: 0
    .sgpr_count:     12
    .sgpr_spill_count: 0
    .symbol:         _ZN9rocsparseL36csr2bsr_nnz_compute_nnz_total_kernelILj1EiiEEvT1_PKT0_PS2_.kd
    .uniform_work_group_size: 1
    .uses_dynamic_stack: false
    .vgpr_count:     2
    .vgpr_spill_count: 0
    .wavefront_size: 64
  - .args:
      - .offset:         0
        .size:           4
        .value_kind:     by_value
      - .offset:         4
        .size:           4
        .value_kind:     by_value
      - .actual_access:  read_only
        .address_space:  global
        .offset:         8
        .size:           8
        .value_kind:     global_buffer
      - .offset:         16
        .size:           4
        .value_kind:     by_value
      - .actual_access:  write_only
        .address_space:  global
        .offset:         24
        .size:           8
        .value_kind:     global_buffer
      - .actual_access:  write_only
        .address_space:  global
        .offset:         32
        .size:           8
        .value_kind:     global_buffer
      - .offset:         40
        .size:           4
        .value_kind:     hidden_block_count_x
      - .offset:         44
        .size:           4
        .value_kind:     hidden_block_count_y
      - .offset:         48
        .size:           4
        .value_kind:     hidden_block_count_z
      - .offset:         52
        .size:           2
        .value_kind:     hidden_group_size_x
      - .offset:         54
        .size:           2
        .value_kind:     hidden_group_size_y
      - .offset:         56
        .size:           2
        .value_kind:     hidden_group_size_z
      - .offset:         58
        .size:           2
        .value_kind:     hidden_remainder_x
      - .offset:         60
        .size:           2
        .value_kind:     hidden_remainder_y
      - .offset:         62
        .size:           2
        .value_kind:     hidden_remainder_z
      - .offset:         80
        .size:           8
        .value_kind:     hidden_global_offset_x
      - .offset:         88
        .size:           8
        .value_kind:     hidden_global_offset_y
      - .offset:         96
        .size:           8
        .value_kind:     hidden_global_offset_z
      - .offset:         104
        .size:           2
        .value_kind:     hidden_grid_dims
    .group_segment_fixed_size: 0
    .kernarg_segment_align: 8
    .kernarg_segment_size: 296
    .language:       OpenCL C
    .language_version:
      - 2
      - 0
    .max_flat_workgroup_size: 256
    .name:           _ZN9rocsparseL39csr2bsr_nnz_block_dim_equals_one_kernelILj256EliEEvT1_21rocsparse_index_base_PKT0_S2_PS3_S6_
    .private_segment_fixed_size: 0
    .sgpr_count:     16
    .sgpr_spill_count: 0
    .symbol:         _ZN9rocsparseL39csr2bsr_nnz_block_dim_equals_one_kernelILj256EliEEvT1_21rocsparse_index_base_PKT0_S2_PS3_S6_.kd
    .uniform_work_group_size: 1
    .uses_dynamic_stack: false
    .vgpr_count:     6
    .vgpr_spill_count: 0
    .wavefront_size: 64
  - .args:
      - .offset:         0
        .size:           4
        .value_kind:     by_value
      - .offset:         4
        .size:           4
        .value_kind:     by_value
      - .actual_access:  read_only
        .address_space:  global
        .offset:         8
        .size:           8
        .value_kind:     global_buffer
      - .offset:         16
        .size:           4
        .value_kind:     by_value
      - .actual_access:  write_only
        .address_space:  global
        .offset:         24
        .size:           8
        .value_kind:     global_buffer
    .group_segment_fixed_size: 0
    .kernarg_segment_align: 8
    .kernarg_segment_size: 32
    .language:       OpenCL C
    .language_version:
      - 2
      - 0
    .max_flat_workgroup_size: 256
    .name:           _ZN9rocsparseL39csr2bsr_nnz_block_dim_equals_one_kernelILj256EliEEvT1_21rocsparse_index_base_PKT0_S2_PS3_
    .private_segment_fixed_size: 0
    .sgpr_count:     11
    .sgpr_spill_count: 0
    .symbol:         _ZN9rocsparseL39csr2bsr_nnz_block_dim_equals_one_kernelILj256EliEEvT1_21rocsparse_index_base_PKT0_S2_PS3_.kd
    .uniform_work_group_size: 1
    .uses_dynamic_stack: false
    .vgpr_count:     5
    .vgpr_spill_count: 0
    .wavefront_size: 64
  - .args:
      - .offset:         0
        .size:           4
        .value_kind:     by_value
      - .offset:         4
        .size:           4
        .value_kind:     by_value
      - .offset:         8
        .size:           4
        .value_kind:     by_value
      - .offset:         12
        .size:           4
        .value_kind:     by_value
      - .offset:         16
        .size:           4
        .value_kind:     by_value
      - .offset:         20
        .size:           4
        .value_kind:     by_value
      - .actual_access:  read_only
        .address_space:  global
        .offset:         24
        .size:           8
        .value_kind:     global_buffer
      - .actual_access:  read_only
        .address_space:  global
        .offset:         32
        .size:           8
        .value_kind:     global_buffer
      - .offset:         40
        .size:           4
        .value_kind:     by_value
      - .actual_access:  write_only
        .address_space:  global
        .offset:         48
        .size:           8
        .value_kind:     global_buffer
    .group_segment_fixed_size: 80
    .kernarg_segment_align: 8
    .kernarg_segment_size: 56
    .language:       OpenCL C
    .language_version:
      - 2
      - 0
    .max_flat_workgroup_size: 256
    .name:           _ZN9rocsparseL46csr2bsr_nnz_wavefront_per_row_multipass_kernelILj256ELj16ELj4EliEEvT3_S1_S1_S1_S1_21rocsparse_index_base_PKT2_PKS1_S2_PS3_
    .private_segment_fixed_size: 0
    .sgpr_count:     26
    .sgpr_spill_count: 0
    .symbol:         _ZN9rocsparseL46csr2bsr_nnz_wavefront_per_row_multipass_kernelILj256ELj16ELj4EliEEvT3_S1_S1_S1_S1_21rocsparse_index_base_PKT2_PKS1_S2_PS3_.kd
    .uniform_work_group_size: 1
    .uses_dynamic_stack: false
    .vgpr_count:     26
    .vgpr_spill_count: 0
    .wavefront_size: 64
  - .args:
      - .offset:         0
        .size:           4
        .value_kind:     by_value
      - .offset:         4
        .size:           4
        .value_kind:     by_value
      - .offset:         8
        .size:           4
        .value_kind:     by_value
      - .offset:         12
        .size:           4
        .value_kind:     by_value
      - .offset:         16
        .size:           4
        .value_kind:     by_value
      - .offset:         20
        .size:           4
        .value_kind:     by_value
      - .actual_access:  read_only
        .address_space:  global
        .offset:         24
        .size:           8
        .value_kind:     global_buffer
      - .actual_access:  read_only
        .address_space:  global
        .offset:         32
        .size:           8
        .value_kind:     global_buffer
      - .offset:         40
        .size:           4
        .value_kind:     by_value
      - .actual_access:  write_only
        .address_space:  global
        .offset:         48
        .size:           8
        .value_kind:     global_buffer
    .group_segment_fixed_size: 20
    .kernarg_segment_align: 8
    .kernarg_segment_size: 56
    .language:       OpenCL C
    .language_version:
      - 2
      - 0
    .max_flat_workgroup_size: 256
    .name:           _ZN9rocsparseL46csr2bsr_nnz_wavefront_per_row_multipass_kernelILj256ELj64ELj8EliEEvT3_S1_S1_S1_S1_21rocsparse_index_base_PKT2_PKS1_S2_PS3_
    .private_segment_fixed_size: 0
    .sgpr_count:     26
    .sgpr_spill_count: 0
    .symbol:         _ZN9rocsparseL46csr2bsr_nnz_wavefront_per_row_multipass_kernelILj256ELj64ELj8EliEEvT3_S1_S1_S1_S1_21rocsparse_index_base_PKT2_PKS1_S2_PS3_.kd
    .uniform_work_group_size: 1
    .uses_dynamic_stack: false
    .vgpr_count:     26
    .vgpr_spill_count: 0
    .wavefront_size: 64
  - .args:
      - .offset:         0
        .size:           4
        .value_kind:     by_value
      - .offset:         4
        .size:           4
        .value_kind:     by_value
      - .offset:         8
        .size:           4
        .value_kind:     by_value
      - .offset:         12
        .size:           4
        .value_kind:     by_value
      - .offset:         16
        .size:           4
        .value_kind:     by_value
      - .offset:         20
        .size:           4
        .value_kind:     by_value
      - .actual_access:  read_only
        .address_space:  global
        .offset:         24
        .size:           8
        .value_kind:     global_buffer
      - .actual_access:  read_only
        .address_space:  global
        .offset:         32
        .size:           8
        .value_kind:     global_buffer
      - .offset:         40
        .size:           4
        .value_kind:     by_value
      - .actual_access:  write_only
        .address_space:  global
        .offset:         48
        .size:           8
        .value_kind:     global_buffer
    .group_segment_fixed_size: 40
    .kernarg_segment_align: 8
    .kernarg_segment_size: 56
    .language:       OpenCL C
    .language_version:
      - 2
      - 0
    .max_flat_workgroup_size: 256
    .name:           _ZN9rocsparseL46csr2bsr_nnz_wavefront_per_row_multipass_kernelILj256ELj32ELj8EliEEvT3_S1_S1_S1_S1_21rocsparse_index_base_PKT2_PKS1_S2_PS3_
    .private_segment_fixed_size: 0
    .sgpr_count:     26
    .sgpr_spill_count: 0
    .symbol:         _ZN9rocsparseL46csr2bsr_nnz_wavefront_per_row_multipass_kernelILj256ELj32ELj8EliEEvT3_S1_S1_S1_S1_21rocsparse_index_base_PKT2_PKS1_S2_PS3_.kd
    .uniform_work_group_size: 1
    .uses_dynamic_stack: false
    .vgpr_count:     26
    .vgpr_spill_count: 0
    .wavefront_size: 64
  - .args:
      - .offset:         0
        .size:           4
        .value_kind:     by_value
      - .offset:         4
        .size:           4
        .value_kind:     by_value
      - .offset:         8
        .size:           4
        .value_kind:     by_value
      - .offset:         12
        .size:           4
        .value_kind:     by_value
      - .offset:         16
        .size:           4
        .value_kind:     by_value
      - .offset:         20
        .size:           4
        .value_kind:     by_value
      - .actual_access:  read_only
        .address_space:  global
        .offset:         24
        .size:           8
        .value_kind:     global_buffer
      - .actual_access:  read_only
        .address_space:  global
        .offset:         32
        .size:           8
        .value_kind:     global_buffer
      - .offset:         40
        .size:           4
        .value_kind:     by_value
      - .actual_access:  write_only
        .address_space:  global
        .offset:         48
        .size:           8
        .value_kind:     global_buffer
    .group_segment_fixed_size: 20
    .kernarg_segment_align: 8
    .kernarg_segment_size: 56
    .language:       OpenCL C
    .language_version:
      - 2
      - 0
    .max_flat_workgroup_size: 256
    .name:           _ZN9rocsparseL46csr2bsr_nnz_wavefront_per_row_multipass_kernelILj256ELj64ELj16EliEEvT3_S1_S1_S1_S1_21rocsparse_index_base_PKT2_PKS1_S2_PS3_
    .private_segment_fixed_size: 0
    .sgpr_count:     26
    .sgpr_spill_count: 0
    .symbol:         _ZN9rocsparseL46csr2bsr_nnz_wavefront_per_row_multipass_kernelILj256ELj64ELj16EliEEvT3_S1_S1_S1_S1_21rocsparse_index_base_PKT2_PKS1_S2_PS3_.kd
    .uniform_work_group_size: 1
    .uses_dynamic_stack: false
    .vgpr_count:     26
    .vgpr_spill_count: 0
    .wavefront_size: 64
  - .args:
      - .offset:         0
        .size:           4
        .value_kind:     by_value
      - .offset:         4
        .size:           4
        .value_kind:     by_value
      - .offset:         8
        .size:           4
        .value_kind:     by_value
      - .offset:         12
        .size:           4
        .value_kind:     by_value
      - .offset:         16
        .size:           4
        .value_kind:     by_value
      - .offset:         20
        .size:           4
        .value_kind:     by_value
      - .actual_access:  read_only
        .address_space:  global
        .offset:         24
        .size:           8
        .value_kind:     global_buffer
      - .actual_access:  read_only
        .address_space:  global
        .offset:         32
        .size:           8
        .value_kind:     global_buffer
      - .offset:         40
        .size:           4
        .value_kind:     by_value
      - .actual_access:  write_only
        .address_space:  global
        .offset:         48
        .size:           8
        .value_kind:     global_buffer
    .group_segment_fixed_size: 40
    .kernarg_segment_align: 8
    .kernarg_segment_size: 56
    .language:       OpenCL C
    .language_version:
      - 2
      - 0
    .max_flat_workgroup_size: 256
    .name:           _ZN9rocsparseL46csr2bsr_nnz_wavefront_per_row_multipass_kernelILj256ELj32ELj16EliEEvT3_S1_S1_S1_S1_21rocsparse_index_base_PKT2_PKS1_S2_PS3_
    .private_segment_fixed_size: 0
    .sgpr_count:     26
    .sgpr_spill_count: 0
    .symbol:         _ZN9rocsparseL46csr2bsr_nnz_wavefront_per_row_multipass_kernelILj256ELj32ELj16EliEEvT3_S1_S1_S1_S1_21rocsparse_index_base_PKT2_PKS1_S2_PS3_.kd
    .uniform_work_group_size: 1
    .uses_dynamic_stack: false
    .vgpr_count:     26
    .vgpr_spill_count: 0
    .wavefront_size: 64
  - .args:
      - .offset:         0
        .size:           4
        .value_kind:     by_value
      - .offset:         4
        .size:           4
        .value_kind:     by_value
      - .offset:         8
        .size:           4
        .value_kind:     by_value
      - .offset:         12
        .size:           4
        .value_kind:     by_value
      - .offset:         16
        .size:           4
        .value_kind:     by_value
      - .offset:         20
        .size:           4
        .value_kind:     by_value
      - .actual_access:  read_only
        .address_space:  global
        .offset:         24
        .size:           8
        .value_kind:     global_buffer
      - .actual_access:  read_only
        .address_space:  global
        .offset:         32
        .size:           8
        .value_kind:     global_buffer
      - .offset:         40
        .size:           4
        .value_kind:     by_value
      - .actual_access:  write_only
        .address_space:  global
        .offset:         48
        .size:           8
        .value_kind:     global_buffer
    .group_segment_fixed_size: 1032
    .kernarg_segment_align: 8
    .kernarg_segment_size: 56
    .language:       OpenCL C
    .language_version:
      - 2
      - 0
    .max_flat_workgroup_size: 256
    .name:           _ZN9rocsparseL42csr2bsr_nnz_block_per_row_multipass_kernelILj256ELj32EliEEvT2_S1_S1_S1_S1_21rocsparse_index_base_PKT1_PKS1_S2_PS3_
    .private_segment_fixed_size: 0
    .sgpr_count:     40
    .sgpr_spill_count: 0
    .symbol:         _ZN9rocsparseL42csr2bsr_nnz_block_per_row_multipass_kernelILj256ELj32EliEEvT2_S1_S1_S1_S1_21rocsparse_index_base_PKT1_PKS1_S2_PS3_.kd
    .uniform_work_group_size: 1
    .uses_dynamic_stack: false
    .vgpr_count:     23
    .vgpr_spill_count: 0
    .wavefront_size: 64
  - .args:
      - .offset:         0
        .size:           4
        .value_kind:     by_value
      - .offset:         4
        .size:           4
        .value_kind:     by_value
      - .offset:         8
        .size:           4
        .value_kind:     by_value
      - .offset:         12
        .size:           4
        .value_kind:     by_value
      - .offset:         16
        .size:           4
        .value_kind:     by_value
      - .offset:         20
        .size:           4
        .value_kind:     by_value
      - .actual_access:  read_only
        .address_space:  global
        .offset:         24
        .size:           8
        .value_kind:     global_buffer
      - .actual_access:  read_only
        .address_space:  global
        .offset:         32
        .size:           8
        .value_kind:     global_buffer
      - .offset:         40
        .size:           4
        .value_kind:     by_value
      - .actual_access:  write_only
        .address_space:  global
        .offset:         48
        .size:           8
        .value_kind:     global_buffer
    .group_segment_fixed_size: 1032
    .kernarg_segment_align: 8
    .kernarg_segment_size: 56
    .language:       OpenCL C
    .language_version:
      - 2
      - 0
    .max_flat_workgroup_size: 256
    .name:           _ZN9rocsparseL42csr2bsr_nnz_block_per_row_multipass_kernelILj256ELj64EliEEvT2_S1_S1_S1_S1_21rocsparse_index_base_PKT1_PKS1_S2_PS3_
    .private_segment_fixed_size: 0
    .sgpr_count:     40
    .sgpr_spill_count: 0
    .symbol:         _ZN9rocsparseL42csr2bsr_nnz_block_per_row_multipass_kernelILj256ELj64EliEEvT2_S1_S1_S1_S1_21rocsparse_index_base_PKT1_PKS1_S2_PS3_.kd
    .uniform_work_group_size: 1
    .uses_dynamic_stack: false
    .vgpr_count:     23
    .vgpr_spill_count: 0
    .wavefront_size: 64
  - .args:
      - .offset:         0
        .size:           4
        .value_kind:     by_value
      - .offset:         4
        .size:           4
        .value_kind:     by_value
      - .offset:         8
        .size:           4
        .value_kind:     by_value
      - .offset:         12
        .size:           4
        .value_kind:     by_value
      - .offset:         16
        .size:           4
        .value_kind:     by_value
      - .offset:         20
        .size:           4
        .value_kind:     by_value
      - .offset:         24
        .size:           4
        .value_kind:     by_value
      - .actual_access:  read_only
        .address_space:  global
        .offset:         32
        .size:           8
        .value_kind:     global_buffer
      - .actual_access:  read_only
        .address_space:  global
        .offset:         40
        .size:           8
        .value_kind:     global_buffer
      - .offset:         48
        .size:           4
        .value_kind:     by_value
      - .actual_access:  write_only
        .address_space:  global
        .offset:         56
        .size:           8
        .value_kind:     global_buffer
      - .address_space:  global
        .offset:         64
        .size:           8
        .value_kind:     global_buffer
    .group_segment_fixed_size: 0
    .kernarg_segment_align: 8
    .kernarg_segment_size: 72
    .language:       OpenCL C
    .language_version:
      - 2
      - 0
    .max_flat_workgroup_size: 32
    .name:           _ZN9rocsparseL25csr2bsr_nnz_65_inf_kernelILj32EliEEvT1_S1_S1_S1_S1_S1_21rocsparse_index_base_PKT0_PKS1_S2_PS3_S8_
    .private_segment_fixed_size: 0
    .sgpr_count:     40
    .sgpr_spill_count: 0
    .symbol:         _ZN9rocsparseL25csr2bsr_nnz_65_inf_kernelILj32EliEEvT1_S1_S1_S1_S1_S1_21rocsparse_index_base_PKT0_PKS1_S2_PS3_S8_.kd
    .uniform_work_group_size: 1
    .uses_dynamic_stack: false
    .vgpr_count:     23
    .vgpr_spill_count: 0
    .wavefront_size: 64
  - .args:
      - .offset:         0
        .size:           4
        .value_kind:     by_value
      - .actual_access:  read_only
        .address_space:  global
        .offset:         8
        .size:           8
        .value_kind:     global_buffer
      - .actual_access:  write_only
        .address_space:  global
        .offset:         16
        .size:           8
        .value_kind:     global_buffer
    .group_segment_fixed_size: 0
    .kernarg_segment_align: 8
    .kernarg_segment_size: 24
    .language:       OpenCL C
    .language_version:
      - 2
      - 0
    .max_flat_workgroup_size: 1
    .name:           _ZN9rocsparseL36csr2bsr_nnz_compute_nnz_total_kernelILj1EliEEvT1_PKT0_PS2_
    .private_segment_fixed_size: 0
    .sgpr_count:     14
    .sgpr_spill_count: 0
    .symbol:         _ZN9rocsparseL36csr2bsr_nnz_compute_nnz_total_kernelILj1EliEEvT1_PKT0_PS2_.kd
    .uniform_work_group_size: 1
    .uses_dynamic_stack: false
    .vgpr_count:     3
    .vgpr_spill_count: 0
    .wavefront_size: 64
  - .args:
      - .offset:         0
        .size:           8
        .value_kind:     by_value
      - .offset:         8
        .size:           4
        .value_kind:     by_value
      - .actual_access:  read_only
        .address_space:  global
        .offset:         16
        .size:           8
        .value_kind:     global_buffer
      - .offset:         24
        .size:           4
        .value_kind:     by_value
      - .actual_access:  write_only
        .address_space:  global
        .offset:         32
        .size:           8
        .value_kind:     global_buffer
      - .actual_access:  write_only
        .address_space:  global
        .offset:         40
        .size:           8
        .value_kind:     global_buffer
      - .offset:         48
        .size:           4
        .value_kind:     hidden_block_count_x
      - .offset:         52
        .size:           4
        .value_kind:     hidden_block_count_y
      - .offset:         56
        .size:           4
        .value_kind:     hidden_block_count_z
      - .offset:         60
        .size:           2
        .value_kind:     hidden_group_size_x
      - .offset:         62
        .size:           2
        .value_kind:     hidden_group_size_y
      - .offset:         64
        .size:           2
        .value_kind:     hidden_group_size_z
      - .offset:         66
        .size:           2
        .value_kind:     hidden_remainder_x
      - .offset:         68
        .size:           2
        .value_kind:     hidden_remainder_y
      - .offset:         70
        .size:           2
        .value_kind:     hidden_remainder_z
      - .offset:         88
        .size:           8
        .value_kind:     hidden_global_offset_x
      - .offset:         96
        .size:           8
        .value_kind:     hidden_global_offset_y
      - .offset:         104
        .size:           8
        .value_kind:     hidden_global_offset_z
      - .offset:         112
        .size:           2
        .value_kind:     hidden_grid_dims
    .group_segment_fixed_size: 0
    .kernarg_segment_align: 8
    .kernarg_segment_size: 304
    .language:       OpenCL C
    .language_version:
      - 2
      - 0
    .max_flat_workgroup_size: 256
    .name:           _ZN9rocsparseL39csr2bsr_nnz_block_dim_equals_one_kernelILj256EilEEvT1_21rocsparse_index_base_PKT0_S2_PS3_S6_
    .private_segment_fixed_size: 0
    .sgpr_count:     16
    .sgpr_spill_count: 0
    .symbol:         _ZN9rocsparseL39csr2bsr_nnz_block_dim_equals_one_kernelILj256EilEEvT1_21rocsparse_index_base_PKT0_S2_PS3_S6_.kd
    .uniform_work_group_size: 1
    .uses_dynamic_stack: false
    .vgpr_count:     5
    .vgpr_spill_count: 0
    .wavefront_size: 64
  - .args:
      - .offset:         0
        .size:           8
        .value_kind:     by_value
      - .offset:         8
        .size:           4
        .value_kind:     by_value
      - .actual_access:  read_only
        .address_space:  global
        .offset:         16
        .size:           8
        .value_kind:     global_buffer
      - .offset:         24
        .size:           4
        .value_kind:     by_value
      - .actual_access:  write_only
        .address_space:  global
        .offset:         32
        .size:           8
        .value_kind:     global_buffer
    .group_segment_fixed_size: 0
    .kernarg_segment_align: 8
    .kernarg_segment_size: 40
    .language:       OpenCL C
    .language_version:
      - 2
      - 0
    .max_flat_workgroup_size: 256
    .name:           _ZN9rocsparseL39csr2bsr_nnz_block_dim_equals_one_kernelILj256EilEEvT1_21rocsparse_index_base_PKT0_S2_PS3_
    .private_segment_fixed_size: 0
    .sgpr_count:     11
    .sgpr_spill_count: 0
    .symbol:         _ZN9rocsparseL39csr2bsr_nnz_block_dim_equals_one_kernelILj256EilEEvT1_21rocsparse_index_base_PKT0_S2_PS3_.kd
    .uniform_work_group_size: 1
    .uses_dynamic_stack: false
    .vgpr_count:     4
    .vgpr_spill_count: 0
    .wavefront_size: 64
  - .args:
      - .offset:         0
        .size:           8
        .value_kind:     by_value
      - .offset:         8
        .size:           8
        .value_kind:     by_value
      - .offset:         16
        .size:           8
        .value_kind:     by_value
      - .offset:         24
        .size:           8
        .value_kind:     by_value
      - .offset:         32
        .size:           8
        .value_kind:     by_value
      - .offset:         40
        .size:           4
        .value_kind:     by_value
      - .actual_access:  read_only
        .address_space:  global
        .offset:         48
        .size:           8
        .value_kind:     global_buffer
      - .actual_access:  read_only
        .address_space:  global
        .offset:         56
        .size:           8
        .value_kind:     global_buffer
      - .offset:         64
        .size:           4
        .value_kind:     by_value
      - .actual_access:  write_only
        .address_space:  global
        .offset:         72
        .size:           8
        .value_kind:     global_buffer
    .group_segment_fixed_size: 144
    .kernarg_segment_align: 8
    .kernarg_segment_size: 80
    .language:       OpenCL C
    .language_version:
      - 2
      - 0
    .max_flat_workgroup_size: 256
    .name:           _ZN9rocsparseL46csr2bsr_nnz_wavefront_per_row_multipass_kernelILj256ELj16ELj4EilEEvT3_S1_S1_S1_S1_21rocsparse_index_base_PKT2_PKS1_S2_PS3_
    .private_segment_fixed_size: 0
    .sgpr_count:     40
    .sgpr_spill_count: 0
    .symbol:         _ZN9rocsparseL46csr2bsr_nnz_wavefront_per_row_multipass_kernelILj256ELj16ELj4EilEEvT3_S1_S1_S1_S1_21rocsparse_index_base_PKT2_PKS1_S2_PS3_.kd
    .uniform_work_group_size: 1
    .uses_dynamic_stack: false
    .vgpr_count:     26
    .vgpr_spill_count: 0
    .wavefront_size: 64
  - .args:
      - .offset:         0
        .size:           8
        .value_kind:     by_value
      - .offset:         8
        .size:           8
        .value_kind:     by_value
      - .offset:         16
        .size:           8
        .value_kind:     by_value
      - .offset:         24
        .size:           8
        .value_kind:     by_value
      - .offset:         32
        .size:           8
        .value_kind:     by_value
      - .offset:         40
        .size:           4
        .value_kind:     by_value
      - .actual_access:  read_only
        .address_space:  global
        .offset:         48
        .size:           8
        .value_kind:     global_buffer
      - .actual_access:  read_only
        .address_space:  global
        .offset:         56
        .size:           8
        .value_kind:     global_buffer
      - .offset:         64
        .size:           4
        .value_kind:     by_value
      - .actual_access:  write_only
        .address_space:  global
        .offset:         72
        .size:           8
        .value_kind:     global_buffer
    .group_segment_fixed_size: 40
    .kernarg_segment_align: 8
    .kernarg_segment_size: 80
    .language:       OpenCL C
    .language_version:
      - 2
      - 0
    .max_flat_workgroup_size: 256
    .name:           _ZN9rocsparseL46csr2bsr_nnz_wavefront_per_row_multipass_kernelILj256ELj64ELj8EilEEvT3_S1_S1_S1_S1_21rocsparse_index_base_PKT2_PKS1_S2_PS3_
    .private_segment_fixed_size: 0
    .sgpr_count:     40
    .sgpr_spill_count: 0
    .symbol:         _ZN9rocsparseL46csr2bsr_nnz_wavefront_per_row_multipass_kernelILj256ELj64ELj8EilEEvT3_S1_S1_S1_S1_21rocsparse_index_base_PKT2_PKS1_S2_PS3_.kd
    .uniform_work_group_size: 1
    .uses_dynamic_stack: false
    .vgpr_count:     26
    .vgpr_spill_count: 0
    .wavefront_size: 64
  - .args:
      - .offset:         0
        .size:           8
        .value_kind:     by_value
      - .offset:         8
        .size:           8
        .value_kind:     by_value
      - .offset:         16
        .size:           8
        .value_kind:     by_value
      - .offset:         24
        .size:           8
        .value_kind:     by_value
      - .offset:         32
        .size:           8
        .value_kind:     by_value
      - .offset:         40
        .size:           4
        .value_kind:     by_value
      - .actual_access:  read_only
        .address_space:  global
        .offset:         48
        .size:           8
        .value_kind:     global_buffer
      - .actual_access:  read_only
        .address_space:  global
        .offset:         56
        .size:           8
        .value_kind:     global_buffer
      - .offset:         64
        .size:           4
        .value_kind:     by_value
      - .actual_access:  write_only
        .address_space:  global
        .offset:         72
        .size:           8
        .value_kind:     global_buffer
    .group_segment_fixed_size: 72
    .kernarg_segment_align: 8
    .kernarg_segment_size: 80
    .language:       OpenCL C
    .language_version:
      - 2
      - 0
    .max_flat_workgroup_size: 256
    .name:           _ZN9rocsparseL46csr2bsr_nnz_wavefront_per_row_multipass_kernelILj256ELj32ELj8EilEEvT3_S1_S1_S1_S1_21rocsparse_index_base_PKT2_PKS1_S2_PS3_
    .private_segment_fixed_size: 0
    .sgpr_count:     40
    .sgpr_spill_count: 0
    .symbol:         _ZN9rocsparseL46csr2bsr_nnz_wavefront_per_row_multipass_kernelILj256ELj32ELj8EilEEvT3_S1_S1_S1_S1_21rocsparse_index_base_PKT2_PKS1_S2_PS3_.kd
    .uniform_work_group_size: 1
    .uses_dynamic_stack: false
    .vgpr_count:     26
    .vgpr_spill_count: 0
    .wavefront_size: 64
  - .args:
      - .offset:         0
        .size:           8
        .value_kind:     by_value
      - .offset:         8
        .size:           8
        .value_kind:     by_value
      - .offset:         16
        .size:           8
        .value_kind:     by_value
      - .offset:         24
        .size:           8
        .value_kind:     by_value
      - .offset:         32
        .size:           8
        .value_kind:     by_value
      - .offset:         40
        .size:           4
        .value_kind:     by_value
      - .actual_access:  read_only
        .address_space:  global
        .offset:         48
        .size:           8
        .value_kind:     global_buffer
      - .actual_access:  read_only
        .address_space:  global
        .offset:         56
        .size:           8
        .value_kind:     global_buffer
      - .offset:         64
        .size:           4
        .value_kind:     by_value
      - .actual_access:  write_only
        .address_space:  global
        .offset:         72
        .size:           8
        .value_kind:     global_buffer
    .group_segment_fixed_size: 40
    .kernarg_segment_align: 8
    .kernarg_segment_size: 80
    .language:       OpenCL C
    .language_version:
      - 2
      - 0
    .max_flat_workgroup_size: 256
    .name:           _ZN9rocsparseL46csr2bsr_nnz_wavefront_per_row_multipass_kernelILj256ELj64ELj16EilEEvT3_S1_S1_S1_S1_21rocsparse_index_base_PKT2_PKS1_S2_PS3_
    .private_segment_fixed_size: 0
    .sgpr_count:     40
    .sgpr_spill_count: 0
    .symbol:         _ZN9rocsparseL46csr2bsr_nnz_wavefront_per_row_multipass_kernelILj256ELj64ELj16EilEEvT3_S1_S1_S1_S1_21rocsparse_index_base_PKT2_PKS1_S2_PS3_.kd
    .uniform_work_group_size: 1
    .uses_dynamic_stack: false
    .vgpr_count:     26
    .vgpr_spill_count: 0
    .wavefront_size: 64
  - .args:
      - .offset:         0
        .size:           8
        .value_kind:     by_value
      - .offset:         8
        .size:           8
        .value_kind:     by_value
      - .offset:         16
        .size:           8
        .value_kind:     by_value
      - .offset:         24
        .size:           8
        .value_kind:     by_value
      - .offset:         32
        .size:           8
        .value_kind:     by_value
      - .offset:         40
        .size:           4
        .value_kind:     by_value
      - .actual_access:  read_only
        .address_space:  global
        .offset:         48
        .size:           8
        .value_kind:     global_buffer
      - .actual_access:  read_only
        .address_space:  global
        .offset:         56
        .size:           8
        .value_kind:     global_buffer
      - .offset:         64
        .size:           4
        .value_kind:     by_value
      - .actual_access:  write_only
        .address_space:  global
        .offset:         72
        .size:           8
        .value_kind:     global_buffer
    .group_segment_fixed_size: 72
    .kernarg_segment_align: 8
    .kernarg_segment_size: 80
    .language:       OpenCL C
    .language_version:
      - 2
      - 0
    .max_flat_workgroup_size: 256
    .name:           _ZN9rocsparseL46csr2bsr_nnz_wavefront_per_row_multipass_kernelILj256ELj32ELj16EilEEvT3_S1_S1_S1_S1_21rocsparse_index_base_PKT2_PKS1_S2_PS3_
    .private_segment_fixed_size: 0
    .sgpr_count:     40
    .sgpr_spill_count: 0
    .symbol:         _ZN9rocsparseL46csr2bsr_nnz_wavefront_per_row_multipass_kernelILj256ELj32ELj16EilEEvT3_S1_S1_S1_S1_21rocsparse_index_base_PKT2_PKS1_S2_PS3_.kd
    .uniform_work_group_size: 1
    .uses_dynamic_stack: false
    .vgpr_count:     26
    .vgpr_spill_count: 0
    .wavefront_size: 64
  - .args:
      - .offset:         0
        .size:           8
        .value_kind:     by_value
      - .offset:         8
        .size:           8
        .value_kind:     by_value
      - .offset:         16
        .size:           8
        .value_kind:     by_value
      - .offset:         24
        .size:           8
        .value_kind:     by_value
      - .offset:         32
        .size:           8
        .value_kind:     by_value
      - .offset:         40
        .size:           4
        .value_kind:     by_value
      - .actual_access:  read_only
        .address_space:  global
        .offset:         48
        .size:           8
        .value_kind:     global_buffer
      - .actual_access:  read_only
        .address_space:  global
        .offset:         56
        .size:           8
        .value_kind:     global_buffer
      - .offset:         64
        .size:           4
        .value_kind:     by_value
      - .actual_access:  write_only
        .address_space:  global
        .offset:         72
        .size:           8
        .value_kind:     global_buffer
    .group_segment_fixed_size: 2064
    .kernarg_segment_align: 8
    .kernarg_segment_size: 80
    .language:       OpenCL C
    .language_version:
      - 2
      - 0
    .max_flat_workgroup_size: 256
    .name:           _ZN9rocsparseL42csr2bsr_nnz_block_per_row_multipass_kernelILj256ELj32EilEEvT2_S1_S1_S1_S1_21rocsparse_index_base_PKT1_PKS1_S2_PS3_
    .private_segment_fixed_size: 0
    .sgpr_count:     52
    .sgpr_spill_count: 0
    .symbol:         _ZN9rocsparseL42csr2bsr_nnz_block_per_row_multipass_kernelILj256ELj32EilEEvT2_S1_S1_S1_S1_21rocsparse_index_base_PKT1_PKS1_S2_PS3_.kd
    .uniform_work_group_size: 1
    .uses_dynamic_stack: false
    .vgpr_count:     24
    .vgpr_spill_count: 0
    .wavefront_size: 64
  - .args:
      - .offset:         0
        .size:           8
        .value_kind:     by_value
      - .offset:         8
        .size:           8
        .value_kind:     by_value
      - .offset:         16
        .size:           8
        .value_kind:     by_value
      - .offset:         24
        .size:           8
        .value_kind:     by_value
      - .offset:         32
        .size:           8
        .value_kind:     by_value
      - .offset:         40
        .size:           4
        .value_kind:     by_value
      - .actual_access:  read_only
        .address_space:  global
        .offset:         48
        .size:           8
        .value_kind:     global_buffer
      - .actual_access:  read_only
        .address_space:  global
        .offset:         56
        .size:           8
        .value_kind:     global_buffer
      - .offset:         64
        .size:           4
        .value_kind:     by_value
      - .actual_access:  write_only
        .address_space:  global
        .offset:         72
        .size:           8
        .value_kind:     global_buffer
    .group_segment_fixed_size: 2064
    .kernarg_segment_align: 8
    .kernarg_segment_size: 80
    .language:       OpenCL C
    .language_version:
      - 2
      - 0
    .max_flat_workgroup_size: 256
    .name:           _ZN9rocsparseL42csr2bsr_nnz_block_per_row_multipass_kernelILj256ELj64EilEEvT2_S1_S1_S1_S1_21rocsparse_index_base_PKT1_PKS1_S2_PS3_
    .private_segment_fixed_size: 0
    .sgpr_count:     52
    .sgpr_spill_count: 0
    .symbol:         _ZN9rocsparseL42csr2bsr_nnz_block_per_row_multipass_kernelILj256ELj64EilEEvT2_S1_S1_S1_S1_21rocsparse_index_base_PKT1_PKS1_S2_PS3_.kd
    .uniform_work_group_size: 1
    .uses_dynamic_stack: false
    .vgpr_count:     24
    .vgpr_spill_count: 0
    .wavefront_size: 64
  - .args:
      - .offset:         0
        .size:           8
        .value_kind:     by_value
      - .offset:         8
        .size:           8
        .value_kind:     by_value
      - .offset:         16
        .size:           8
        .value_kind:     by_value
      - .offset:         24
        .size:           8
        .value_kind:     by_value
      - .offset:         32
        .size:           8
        .value_kind:     by_value
      - .offset:         40
        .size:           8
        .value_kind:     by_value
      - .offset:         48
        .size:           4
        .value_kind:     by_value
      - .actual_access:  read_only
        .address_space:  global
        .offset:         56
        .size:           8
        .value_kind:     global_buffer
      - .actual_access:  read_only
        .address_space:  global
        .offset:         64
        .size:           8
        .value_kind:     global_buffer
      - .offset:         72
        .size:           4
        .value_kind:     by_value
      - .actual_access:  write_only
        .address_space:  global
        .offset:         80
        .size:           8
        .value_kind:     global_buffer
      - .address_space:  global
        .offset:         88
        .size:           8
        .value_kind:     global_buffer
    .group_segment_fixed_size: 0
    .kernarg_segment_align: 8
    .kernarg_segment_size: 96
    .language:       OpenCL C
    .language_version:
      - 2
      - 0
    .max_flat_workgroup_size: 32
    .name:           _ZN9rocsparseL25csr2bsr_nnz_65_inf_kernelILj32EilEEvT1_S1_S1_S1_S1_S1_21rocsparse_index_base_PKT0_PKS1_S2_PS3_S8_
    .private_segment_fixed_size: 0
    .sgpr_count:     53
    .sgpr_spill_count: 0
    .symbol:         _ZN9rocsparseL25csr2bsr_nnz_65_inf_kernelILj32EilEEvT1_S1_S1_S1_S1_S1_21rocsparse_index_base_PKT0_PKS1_S2_PS3_S8_.kd
    .uniform_work_group_size: 1
    .uses_dynamic_stack: false
    .vgpr_count:     29
    .vgpr_spill_count: 0
    .wavefront_size: 64
  - .args:
      - .offset:         0
        .size:           8
        .value_kind:     by_value
      - .actual_access:  read_only
        .address_space:  global
        .offset:         8
        .size:           8
        .value_kind:     global_buffer
      - .actual_access:  write_only
        .address_space:  global
        .offset:         16
        .size:           8
        .value_kind:     global_buffer
    .group_segment_fixed_size: 0
    .kernarg_segment_align: 8
    .kernarg_segment_size: 24
    .language:       OpenCL C
    .language_version:
      - 2
      - 0
    .max_flat_workgroup_size: 1
    .name:           _ZN9rocsparseL36csr2bsr_nnz_compute_nnz_total_kernelILj1EilEEvT1_PKT0_PS2_
    .private_segment_fixed_size: 0
    .sgpr_count:     12
    .sgpr_spill_count: 0
    .symbol:         _ZN9rocsparseL36csr2bsr_nnz_compute_nnz_total_kernelILj1EilEEvT1_PKT0_PS2_.kd
    .uniform_work_group_size: 1
    .uses_dynamic_stack: false
    .vgpr_count:     2
    .vgpr_spill_count: 0
    .wavefront_size: 64
  - .args:
      - .offset:         0
        .size:           8
        .value_kind:     by_value
      - .offset:         8
        .size:           4
        .value_kind:     by_value
      - .actual_access:  read_only
        .address_space:  global
        .offset:         16
        .size:           8
        .value_kind:     global_buffer
      - .offset:         24
        .size:           4
        .value_kind:     by_value
      - .actual_access:  write_only
        .address_space:  global
        .offset:         32
        .size:           8
        .value_kind:     global_buffer
      - .actual_access:  write_only
        .address_space:  global
        .offset:         40
        .size:           8
        .value_kind:     global_buffer
      - .offset:         48
        .size:           4
        .value_kind:     hidden_block_count_x
      - .offset:         52
        .size:           4
        .value_kind:     hidden_block_count_y
      - .offset:         56
        .size:           4
        .value_kind:     hidden_block_count_z
      - .offset:         60
        .size:           2
        .value_kind:     hidden_group_size_x
      - .offset:         62
        .size:           2
        .value_kind:     hidden_group_size_y
      - .offset:         64
        .size:           2
        .value_kind:     hidden_group_size_z
      - .offset:         66
        .size:           2
        .value_kind:     hidden_remainder_x
      - .offset:         68
        .size:           2
        .value_kind:     hidden_remainder_y
      - .offset:         70
        .size:           2
        .value_kind:     hidden_remainder_z
      - .offset:         88
        .size:           8
        .value_kind:     hidden_global_offset_x
      - .offset:         96
        .size:           8
        .value_kind:     hidden_global_offset_y
      - .offset:         104
        .size:           8
        .value_kind:     hidden_global_offset_z
      - .offset:         112
        .size:           2
        .value_kind:     hidden_grid_dims
    .group_segment_fixed_size: 0
    .kernarg_segment_align: 8
    .kernarg_segment_size: 304
    .language:       OpenCL C
    .language_version:
      - 2
      - 0
    .max_flat_workgroup_size: 256
    .name:           _ZN9rocsparseL39csr2bsr_nnz_block_dim_equals_one_kernelILj256EllEEvT1_21rocsparse_index_base_PKT0_S2_PS3_S6_
    .private_segment_fixed_size: 0
    .sgpr_count:     16
    .sgpr_spill_count: 0
    .symbol:         _ZN9rocsparseL39csr2bsr_nnz_block_dim_equals_one_kernelILj256EllEEvT1_21rocsparse_index_base_PKT0_S2_PS3_S6_.kd
    .uniform_work_group_size: 1
    .uses_dynamic_stack: false
    .vgpr_count:     6
    .vgpr_spill_count: 0
    .wavefront_size: 64
  - .args:
      - .offset:         0
        .size:           8
        .value_kind:     by_value
      - .offset:         8
        .size:           4
        .value_kind:     by_value
      - .actual_access:  read_only
        .address_space:  global
        .offset:         16
        .size:           8
        .value_kind:     global_buffer
      - .offset:         24
        .size:           4
        .value_kind:     by_value
      - .actual_access:  write_only
        .address_space:  global
        .offset:         32
        .size:           8
        .value_kind:     global_buffer
    .group_segment_fixed_size: 0
    .kernarg_segment_align: 8
    .kernarg_segment_size: 40
    .language:       OpenCL C
    .language_version:
      - 2
      - 0
    .max_flat_workgroup_size: 256
    .name:           _ZN9rocsparseL39csr2bsr_nnz_block_dim_equals_one_kernelILj256EllEEvT1_21rocsparse_index_base_PKT0_S2_PS3_
    .private_segment_fixed_size: 0
    .sgpr_count:     11
    .sgpr_spill_count: 0
    .symbol:         _ZN9rocsparseL39csr2bsr_nnz_block_dim_equals_one_kernelILj256EllEEvT1_21rocsparse_index_base_PKT0_S2_PS3_.kd
    .uniform_work_group_size: 1
    .uses_dynamic_stack: false
    .vgpr_count:     5
    .vgpr_spill_count: 0
    .wavefront_size: 64
  - .args:
      - .offset:         0
        .size:           8
        .value_kind:     by_value
      - .offset:         8
        .size:           8
        .value_kind:     by_value
      - .offset:         16
        .size:           8
        .value_kind:     by_value
      - .offset:         24
        .size:           8
        .value_kind:     by_value
      - .offset:         32
        .size:           8
        .value_kind:     by_value
      - .offset:         40
        .size:           4
        .value_kind:     by_value
      - .actual_access:  read_only
        .address_space:  global
        .offset:         48
        .size:           8
        .value_kind:     global_buffer
      - .actual_access:  read_only
        .address_space:  global
        .offset:         56
        .size:           8
        .value_kind:     global_buffer
      - .offset:         64
        .size:           4
        .value_kind:     by_value
      - .actual_access:  write_only
        .address_space:  global
        .offset:         72
        .size:           8
        .value_kind:     global_buffer
    .group_segment_fixed_size: 144
    .kernarg_segment_align: 8
    .kernarg_segment_size: 80
    .language:       OpenCL C
    .language_version:
      - 2
      - 0
    .max_flat_workgroup_size: 256
    .name:           _ZN9rocsparseL46csr2bsr_nnz_wavefront_per_row_multipass_kernelILj256ELj16ELj4EllEEvT3_S1_S1_S1_S1_21rocsparse_index_base_PKT2_PKS1_S2_PS3_
    .private_segment_fixed_size: 0
    .sgpr_count:     40
    .sgpr_spill_count: 0
    .symbol:         _ZN9rocsparseL46csr2bsr_nnz_wavefront_per_row_multipass_kernelILj256ELj16ELj4EllEEvT3_S1_S1_S1_S1_21rocsparse_index_base_PKT2_PKS1_S2_PS3_.kd
    .uniform_work_group_size: 1
    .uses_dynamic_stack: false
    .vgpr_count:     31
    .vgpr_spill_count: 0
    .wavefront_size: 64
  - .args:
      - .offset:         0
        .size:           8
        .value_kind:     by_value
      - .offset:         8
        .size:           8
        .value_kind:     by_value
      - .offset:         16
        .size:           8
        .value_kind:     by_value
      - .offset:         24
        .size:           8
        .value_kind:     by_value
      - .offset:         32
        .size:           8
        .value_kind:     by_value
      - .offset:         40
        .size:           4
        .value_kind:     by_value
      - .actual_access:  read_only
        .address_space:  global
        .offset:         48
        .size:           8
        .value_kind:     global_buffer
      - .actual_access:  read_only
        .address_space:  global
        .offset:         56
        .size:           8
        .value_kind:     global_buffer
      - .offset:         64
        .size:           4
        .value_kind:     by_value
      - .actual_access:  write_only
        .address_space:  global
        .offset:         72
        .size:           8
        .value_kind:     global_buffer
    .group_segment_fixed_size: 40
    .kernarg_segment_align: 8
    .kernarg_segment_size: 80
    .language:       OpenCL C
    .language_version:
      - 2
      - 0
    .max_flat_workgroup_size: 256
    .name:           _ZN9rocsparseL46csr2bsr_nnz_wavefront_per_row_multipass_kernelILj256ELj64ELj8EllEEvT3_S1_S1_S1_S1_21rocsparse_index_base_PKT2_PKS1_S2_PS3_
    .private_segment_fixed_size: 0
    .sgpr_count:     40
    .sgpr_spill_count: 0
    .symbol:         _ZN9rocsparseL46csr2bsr_nnz_wavefront_per_row_multipass_kernelILj256ELj64ELj8EllEEvT3_S1_S1_S1_S1_21rocsparse_index_base_PKT2_PKS1_S2_PS3_.kd
    .uniform_work_group_size: 1
    .uses_dynamic_stack: false
    .vgpr_count:     31
    .vgpr_spill_count: 0
    .wavefront_size: 64
  - .args:
      - .offset:         0
        .size:           8
        .value_kind:     by_value
      - .offset:         8
        .size:           8
        .value_kind:     by_value
      - .offset:         16
        .size:           8
        .value_kind:     by_value
      - .offset:         24
        .size:           8
        .value_kind:     by_value
      - .offset:         32
        .size:           8
        .value_kind:     by_value
      - .offset:         40
        .size:           4
        .value_kind:     by_value
      - .actual_access:  read_only
        .address_space:  global
        .offset:         48
        .size:           8
        .value_kind:     global_buffer
      - .actual_access:  read_only
        .address_space:  global
        .offset:         56
        .size:           8
        .value_kind:     global_buffer
      - .offset:         64
        .size:           4
        .value_kind:     by_value
      - .actual_access:  write_only
        .address_space:  global
        .offset:         72
        .size:           8
        .value_kind:     global_buffer
    .group_segment_fixed_size: 72
    .kernarg_segment_align: 8
    .kernarg_segment_size: 80
    .language:       OpenCL C
    .language_version:
      - 2
      - 0
    .max_flat_workgroup_size: 256
    .name:           _ZN9rocsparseL46csr2bsr_nnz_wavefront_per_row_multipass_kernelILj256ELj32ELj8EllEEvT3_S1_S1_S1_S1_21rocsparse_index_base_PKT2_PKS1_S2_PS3_
    .private_segment_fixed_size: 0
    .sgpr_count:     40
    .sgpr_spill_count: 0
    .symbol:         _ZN9rocsparseL46csr2bsr_nnz_wavefront_per_row_multipass_kernelILj256ELj32ELj8EllEEvT3_S1_S1_S1_S1_21rocsparse_index_base_PKT2_PKS1_S2_PS3_.kd
    .uniform_work_group_size: 1
    .uses_dynamic_stack: false
    .vgpr_count:     31
    .vgpr_spill_count: 0
    .wavefront_size: 64
  - .args:
      - .offset:         0
        .size:           8
        .value_kind:     by_value
      - .offset:         8
        .size:           8
        .value_kind:     by_value
      - .offset:         16
        .size:           8
        .value_kind:     by_value
      - .offset:         24
        .size:           8
        .value_kind:     by_value
      - .offset:         32
        .size:           8
        .value_kind:     by_value
      - .offset:         40
        .size:           4
        .value_kind:     by_value
      - .actual_access:  read_only
        .address_space:  global
        .offset:         48
        .size:           8
        .value_kind:     global_buffer
      - .actual_access:  read_only
        .address_space:  global
        .offset:         56
        .size:           8
        .value_kind:     global_buffer
      - .offset:         64
        .size:           4
        .value_kind:     by_value
      - .actual_access:  write_only
        .address_space:  global
        .offset:         72
        .size:           8
        .value_kind:     global_buffer
    .group_segment_fixed_size: 40
    .kernarg_segment_align: 8
    .kernarg_segment_size: 80
    .language:       OpenCL C
    .language_version:
      - 2
      - 0
    .max_flat_workgroup_size: 256
    .name:           _ZN9rocsparseL46csr2bsr_nnz_wavefront_per_row_multipass_kernelILj256ELj64ELj16EllEEvT3_S1_S1_S1_S1_21rocsparse_index_base_PKT2_PKS1_S2_PS3_
    .private_segment_fixed_size: 0
    .sgpr_count:     40
    .sgpr_spill_count: 0
    .symbol:         _ZN9rocsparseL46csr2bsr_nnz_wavefront_per_row_multipass_kernelILj256ELj64ELj16EllEEvT3_S1_S1_S1_S1_21rocsparse_index_base_PKT2_PKS1_S2_PS3_.kd
    .uniform_work_group_size: 1
    .uses_dynamic_stack: false
    .vgpr_count:     31
    .vgpr_spill_count: 0
    .wavefront_size: 64
  - .args:
      - .offset:         0
        .size:           8
        .value_kind:     by_value
      - .offset:         8
        .size:           8
        .value_kind:     by_value
      - .offset:         16
        .size:           8
        .value_kind:     by_value
      - .offset:         24
        .size:           8
        .value_kind:     by_value
      - .offset:         32
        .size:           8
        .value_kind:     by_value
      - .offset:         40
        .size:           4
        .value_kind:     by_value
      - .actual_access:  read_only
        .address_space:  global
        .offset:         48
        .size:           8
        .value_kind:     global_buffer
      - .actual_access:  read_only
        .address_space:  global
        .offset:         56
        .size:           8
        .value_kind:     global_buffer
      - .offset:         64
        .size:           4
        .value_kind:     by_value
      - .actual_access:  write_only
        .address_space:  global
        .offset:         72
        .size:           8
        .value_kind:     global_buffer
    .group_segment_fixed_size: 72
    .kernarg_segment_align: 8
    .kernarg_segment_size: 80
    .language:       OpenCL C
    .language_version:
      - 2
      - 0
    .max_flat_workgroup_size: 256
    .name:           _ZN9rocsparseL46csr2bsr_nnz_wavefront_per_row_multipass_kernelILj256ELj32ELj16EllEEvT3_S1_S1_S1_S1_21rocsparse_index_base_PKT2_PKS1_S2_PS3_
    .private_segment_fixed_size: 0
    .sgpr_count:     40
    .sgpr_spill_count: 0
    .symbol:         _ZN9rocsparseL46csr2bsr_nnz_wavefront_per_row_multipass_kernelILj256ELj32ELj16EllEEvT3_S1_S1_S1_S1_21rocsparse_index_base_PKT2_PKS1_S2_PS3_.kd
    .uniform_work_group_size: 1
    .uses_dynamic_stack: false
    .vgpr_count:     31
    .vgpr_spill_count: 0
    .wavefront_size: 64
  - .args:
      - .offset:         0
        .size:           8
        .value_kind:     by_value
      - .offset:         8
        .size:           8
        .value_kind:     by_value
      - .offset:         16
        .size:           8
        .value_kind:     by_value
      - .offset:         24
        .size:           8
        .value_kind:     by_value
      - .offset:         32
        .size:           8
        .value_kind:     by_value
      - .offset:         40
        .size:           4
        .value_kind:     by_value
      - .actual_access:  read_only
        .address_space:  global
        .offset:         48
        .size:           8
        .value_kind:     global_buffer
      - .actual_access:  read_only
        .address_space:  global
        .offset:         56
        .size:           8
        .value_kind:     global_buffer
      - .offset:         64
        .size:           4
        .value_kind:     by_value
      - .actual_access:  write_only
        .address_space:  global
        .offset:         72
        .size:           8
        .value_kind:     global_buffer
    .group_segment_fixed_size: 2064
    .kernarg_segment_align: 8
    .kernarg_segment_size: 80
    .language:       OpenCL C
    .language_version:
      - 2
      - 0
    .max_flat_workgroup_size: 256
    .name:           _ZN9rocsparseL42csr2bsr_nnz_block_per_row_multipass_kernelILj256ELj32EllEEvT2_S1_S1_S1_S1_21rocsparse_index_base_PKT1_PKS1_S2_PS3_
    .private_segment_fixed_size: 0
    .sgpr_count:     52
    .sgpr_spill_count: 0
    .symbol:         _ZN9rocsparseL42csr2bsr_nnz_block_per_row_multipass_kernelILj256ELj32EllEEvT2_S1_S1_S1_S1_21rocsparse_index_base_PKT1_PKS1_S2_PS3_.kd
    .uniform_work_group_size: 1
    .uses_dynamic_stack: false
    .vgpr_count:     28
    .vgpr_spill_count: 0
    .wavefront_size: 64
  - .args:
      - .offset:         0
        .size:           8
        .value_kind:     by_value
      - .offset:         8
        .size:           8
        .value_kind:     by_value
      - .offset:         16
        .size:           8
        .value_kind:     by_value
      - .offset:         24
        .size:           8
        .value_kind:     by_value
      - .offset:         32
        .size:           8
        .value_kind:     by_value
      - .offset:         40
        .size:           4
        .value_kind:     by_value
      - .actual_access:  read_only
        .address_space:  global
        .offset:         48
        .size:           8
        .value_kind:     global_buffer
      - .actual_access:  read_only
        .address_space:  global
        .offset:         56
        .size:           8
        .value_kind:     global_buffer
      - .offset:         64
        .size:           4
        .value_kind:     by_value
      - .actual_access:  write_only
        .address_space:  global
        .offset:         72
        .size:           8
        .value_kind:     global_buffer
    .group_segment_fixed_size: 2064
    .kernarg_segment_align: 8
    .kernarg_segment_size: 80
    .language:       OpenCL C
    .language_version:
      - 2
      - 0
    .max_flat_workgroup_size: 256
    .name:           _ZN9rocsparseL42csr2bsr_nnz_block_per_row_multipass_kernelILj256ELj64EllEEvT2_S1_S1_S1_S1_21rocsparse_index_base_PKT1_PKS1_S2_PS3_
    .private_segment_fixed_size: 0
    .sgpr_count:     52
    .sgpr_spill_count: 0
    .symbol:         _ZN9rocsparseL42csr2bsr_nnz_block_per_row_multipass_kernelILj256ELj64EllEEvT2_S1_S1_S1_S1_21rocsparse_index_base_PKT1_PKS1_S2_PS3_.kd
    .uniform_work_group_size: 1
    .uses_dynamic_stack: false
    .vgpr_count:     28
    .vgpr_spill_count: 0
    .wavefront_size: 64
  - .args:
      - .offset:         0
        .size:           8
        .value_kind:     by_value
      - .offset:         8
        .size:           8
        .value_kind:     by_value
      - .offset:         16
        .size:           8
        .value_kind:     by_value
      - .offset:         24
        .size:           8
        .value_kind:     by_value
      - .offset:         32
        .size:           8
        .value_kind:     by_value
      - .offset:         40
        .size:           8
        .value_kind:     by_value
      - .offset:         48
        .size:           4
        .value_kind:     by_value
      - .actual_access:  read_only
        .address_space:  global
        .offset:         56
        .size:           8
        .value_kind:     global_buffer
      - .actual_access:  read_only
        .address_space:  global
        .offset:         64
        .size:           8
        .value_kind:     global_buffer
      - .offset:         72
        .size:           4
        .value_kind:     by_value
      - .actual_access:  write_only
        .address_space:  global
        .offset:         80
        .size:           8
        .value_kind:     global_buffer
      - .address_space:  global
        .offset:         88
        .size:           8
        .value_kind:     global_buffer
    .group_segment_fixed_size: 0
    .kernarg_segment_align: 8
    .kernarg_segment_size: 96
    .language:       OpenCL C
    .language_version:
      - 2
      - 0
    .max_flat_workgroup_size: 32
    .name:           _ZN9rocsparseL25csr2bsr_nnz_65_inf_kernelILj32EllEEvT1_S1_S1_S1_S1_S1_21rocsparse_index_base_PKT0_PKS1_S2_PS3_S8_
    .private_segment_fixed_size: 0
    .sgpr_count:     53
    .sgpr_spill_count: 0
    .symbol:         _ZN9rocsparseL25csr2bsr_nnz_65_inf_kernelILj32EllEEvT1_S1_S1_S1_S1_S1_21rocsparse_index_base_PKT0_PKS1_S2_PS3_S8_.kd
    .uniform_work_group_size: 1
    .uses_dynamic_stack: false
    .vgpr_count:     32
    .vgpr_spill_count: 0
    .wavefront_size: 64
  - .args:
      - .offset:         0
        .size:           8
        .value_kind:     by_value
      - .actual_access:  read_only
        .address_space:  global
        .offset:         8
        .size:           8
        .value_kind:     global_buffer
      - .actual_access:  write_only
        .address_space:  global
        .offset:         16
        .size:           8
        .value_kind:     global_buffer
    .group_segment_fixed_size: 0
    .kernarg_segment_align: 8
    .kernarg_segment_size: 24
    .language:       OpenCL C
    .language_version:
      - 2
      - 0
    .max_flat_workgroup_size: 1
    .name:           _ZN9rocsparseL36csr2bsr_nnz_compute_nnz_total_kernelILj1EllEEvT1_PKT0_PS2_
    .private_segment_fixed_size: 0
    .sgpr_count:     14
    .sgpr_spill_count: 0
    .symbol:         _ZN9rocsparseL36csr2bsr_nnz_compute_nnz_total_kernelILj1EllEEvT1_PKT0_PS2_.kd
    .uniform_work_group_size: 1
    .uses_dynamic_stack: false
    .vgpr_count:     3
    .vgpr_spill_count: 0
    .wavefront_size: 64
amdhsa.target:   amdgcn-amd-amdhsa--gfx906
amdhsa.version:
  - 1
  - 2
...

	.end_amdgpu_metadata
